;; amdgpu-corpus repo=ROCm/rocFFT kind=compiled arch=gfx950 opt=O3
	.text
	.amdgcn_target "amdgcn-amd-amdhsa--gfx950"
	.amdhsa_code_object_version 6
	.protected	bluestein_single_back_len17_dim1_dp_op_CI_CI ; -- Begin function bluestein_single_back_len17_dim1_dp_op_CI_CI
	.globl	bluestein_single_back_len17_dim1_dp_op_CI_CI
	.p2align	8
	.type	bluestein_single_back_len17_dim1_dp_op_CI_CI,@function
bluestein_single_back_len17_dim1_dp_op_CI_CI: ; @bluestein_single_back_len17_dim1_dp_op_CI_CI
; %bb.0:
	s_load_dwordx4 s[8:11], s[0:1], 0x28
	s_mulk_i32 s2, 0x78
	v_add_u32_e32 v0, s2, v0
	v_mov_b32_e32 v1, 0
	s_movk_i32 s3, 0x78
	s_waitcnt lgkmcnt(0)
	v_cmp_gt_u64_e32 vcc, s[8:9], v[0:1]
	s_and_saveexec_b64 s[4:5], vcc
	s_cbranch_execz .LBB0_2
; %bb.1:
	s_load_dwordx2 s[26:27], s[0:1], 0x0
	s_load_dwordx4 s[4:7], s[0:1], 0x18
	s_load_dwordx2 s[8:9], s[0:1], 0x38
	s_mov_b32 s0, 0x88888889
	v_mul_hi_u32 v1, v0, s0
	v_lshrrev_b32_e32 v1, 6, v1
	v_mul_lo_u32 v1, v1, s3
	s_waitcnt lgkmcnt(0)
	s_load_dwordx4 s[0:3], s[6:7], 0x0
                                        ; implicit-def: $vgpr111 : SGPR spill to VGPR lane
	s_load_dwordx4 s[68:71], s[4:5], 0x0
	v_sub_u32_e32 v8, v0, v1
	v_mov_b32_e32 v2, s10
	v_mov_b32_e32 v3, s11
	s_waitcnt lgkmcnt(0)
	v_writelane_b32 v111, s0, 0
	v_mov_b32_e32 v68, s8
	v_mov_b32_e32 v69, s9
	v_writelane_b32 v111, s1, 1
	v_writelane_b32 v111, s2, 2
	;; [unrolled: 1-line block ×3, first 2 shown]
	v_mad_u64_u32 v[70:71], s[0:1], s2, v0, 0
	v_mov_b32_e32 v4, v71
	v_mad_u64_u32 v[4:5], s[0:1], s3, v0, v[4:5]
	v_mov_b32_e32 v71, v4
	;; [unrolled: 2-line block ×4, first 2 shown]
	v_lshl_add_u64 v[0:1], v[4:5], 4, v[2:3]
	global_load_dwordx4 v[2:5], v[0:1], off
	s_load_dwordx16 s[0:15], s[26:27], 0x0
	v_mul_u32_u24_e32 v100, 0x110, v8
	v_mov_b32_e32 v102, 0x50
	v_mov_b32_e32 v103, 0x60
	;; [unrolled: 1-line block ×3, first 2 shown]
	s_waitcnt lgkmcnt(0)
	v_writelane_b32 v111, s0, 4
	v_mov_b32_e32 v105, 0x90
	v_mov_b32_e32 v108, 0xa0
	v_writelane_b32 v111, s1, 5
	v_writelane_b32 v111, s2, 6
	;; [unrolled: 1-line block ×15, first 2 shown]
	v_mov_b32_e32 v104, 0xb0
	v_mov_b32_e32 v106, 0xc0
	s_load_dwordx16 s[52:67], s[26:27], 0xc0
	v_mov_b32_e32 v109, 0xd0
	v_mov_b32_e32 v110, 0xe0
	;; [unrolled: 1-line block ×3, first 2 shown]
	s_load_dwordx16 s[72:87], s[26:27], 0x100
	s_mov_b32 s24, 0x5d8e7cdc
	s_mov_b32 s18, 0x2a9d6da3
	;; [unrolled: 1-line block ×23, first 2 shown]
	s_mov_b32 vcc_hi, 0x3fd71e95
	s_mov_b32 vcc_lo, s24
	s_mov_b32 s23, 0x3fe9895b
	s_waitcnt vmcnt(0)
	v_mul_f64 v[6:7], v[4:5], s[2:3]
	v_fmac_f64_e32 v[6:7], s[0:1], v[2:3]
	v_mul_f64 v[2:3], v[2:3], s[2:3]
	v_fma_f64 v[8:9], v[4:5], s[0:1], -v[2:3]
	v_lshl_add_u64 v[2:3], s[68:69], 4, v[0:1]
	global_load_dwordx4 v[2:5], v[2:3], off
	ds_write_b128 v100, v[6:9]
	s_lshl_b64 s[0:1], s[68:69], 5
	s_waitcnt vmcnt(0)
	v_mul_f64 v[6:7], v[4:5], s[6:7]
	v_fmac_f64_e32 v[6:7], s[4:5], v[2:3]
	v_mul_f64 v[2:3], v[2:3], s[6:7]
	v_fma_f64 v[8:9], v[4:5], s[4:5], -v[2:3]
	v_lshl_add_u64 v[2:3], v[0:1], 0, s[0:1]
	global_load_dwordx4 v[2:5], v[2:3], off
	ds_write_b128 v100, v[6:9] offset:16
	s_waitcnt vmcnt(0)
	v_mul_f64 v[6:7], v[4:5], s[10:11]
	v_fmac_f64_e32 v[6:7], s[8:9], v[2:3]
	v_mul_f64 v[2:3], v[2:3], s[10:11]
	v_fma_f64 v[8:9], v[4:5], s[8:9], -v[2:3]
	v_mad_u64_u32 v[2:3], s[0:1], s68, 48, v[0:1]
	v_mov_b32_e32 v4, v3
	v_mad_u64_u32 v[4:5], s[0:1], s69, 48, v[4:5]
	v_mov_b32_e32 v3, v4
	global_load_dwordx4 v[2:5], v[2:3], off
	ds_write_b128 v100, v[6:9] offset:32
	s_lshl_b64 s[0:1], s[68:69], 6
	s_waitcnt vmcnt(0)
	v_mul_f64 v[6:7], v[4:5], s[14:15]
	v_fmac_f64_e32 v[6:7], s[12:13], v[2:3]
	v_mul_f64 v[2:3], v[2:3], s[14:15]
	v_fma_f64 v[8:9], v[4:5], s[12:13], -v[2:3]
	v_lshl_add_u64 v[2:3], v[0:1], 0, s[0:1]
	global_load_dwordx4 v[2:5], v[2:3], off
	s_load_dwordx16 s[0:15], s[26:27], 0x40
	ds_write_b128 v100, v[6:9] offset:48
	s_waitcnt lgkmcnt(0)
	s_mov_b64 s[50:51], s[14:15]
	s_mov_b64 s[48:49], s[12:13]
	;; [unrolled: 1-line block ×8, first 2 shown]
	s_mov_b32 s14, 0x7c9e640b
	s_mov_b32 s4, 0x370991
	;; [unrolled: 1-line block ×13, first 2 shown]
	s_waitcnt vmcnt(0)
	v_mul_f64 v[6:7], v[4:5], s[2:3]
	v_fmac_f64_e32 v[6:7], s[0:1], v[2:3]
	v_mul_f64 v[2:3], v[2:3], s[2:3]
	v_fma_f64 v[8:9], v[4:5], s[0:1], -v[2:3]
	v_mad_u64_u32 v[2:3], s[0:1], s68, v102, v[0:1]
	s_mul_i32 s0, s69, 0x50
	s_nop 0
	v_add_u32_e32 v3, s0, v3
	global_load_dwordx4 v[2:5], v[2:3], off
	ds_write_b128 v100, v[6:9] offset:64
	s_mov_b32 s2, 0x7faef3
	s_mov_b32 s3, 0xbfef7484
	s_waitcnt vmcnt(0)
	v_mul_f64 v[6:7], v[4:5], s[42:43]
	v_fmac_f64_e32 v[6:7], s[40:41], v[2:3]
	v_mul_f64 v[2:3], v[2:3], s[42:43]
	v_fma_f64 v[8:9], v[4:5], s[40:41], -v[2:3]
	v_mad_u64_u32 v[2:3], s[0:1], s68, v103, v[0:1]
	s_mul_i32 s0, s69, 0x60
	s_nop 0
	v_add_u32_e32 v3, s0, v3
	global_load_dwordx4 v[2:5], v[2:3], off
	ds_write_b128 v100, v[6:9] offset:80
	s_waitcnt vmcnt(0)
	v_mul_f64 v[6:7], v[4:5], s[46:47]
	v_fmac_f64_e32 v[6:7], s[44:45], v[2:3]
	v_mul_f64 v[2:3], v[2:3], s[46:47]
	v_fma_f64 v[8:9], v[4:5], s[44:45], -v[2:3]
	v_mad_u64_u32 v[2:3], s[0:1], s68, v101, v[0:1]
	s_mul_i32 s0, s69, 0x70
	s_nop 0
	v_add_u32_e32 v3, s0, v3
	global_load_dwordx4 v[2:5], v[2:3], off
	ds_write_b128 v100, v[6:9] offset:96
	v_writelane_b32 v111, s36, 20
	s_lshl_b64 s[0:1], s[68:69], 7
	s_nop 0
	v_writelane_b32 v111, s37, 21
	v_writelane_b32 v111, s38, 22
	;; [unrolled: 1-line block ×15, first 2 shown]
	s_waitcnt vmcnt(0)
	v_mul_f64 v[6:7], v[4:5], s[50:51]
	v_fmac_f64_e32 v[6:7], s[48:49], v[2:3]
	v_mul_f64 v[2:3], v[2:3], s[50:51]
	v_fma_f64 v[8:9], v[4:5], s[48:49], -v[2:3]
	v_lshl_add_u64 v[2:3], v[0:1], 0, s[0:1]
	global_load_dwordx4 v[2:5], v[2:3], off
	s_load_dwordx16 s[36:51], s[26:27], 0x80
	ds_write_b128 v100, v[6:9] offset:112
	s_waitcnt vmcnt(0) lgkmcnt(0)
	v_mul_f64 v[6:7], v[4:5], s[38:39]
	v_fmac_f64_e32 v[6:7], s[36:37], v[2:3]
	v_mul_f64 v[2:3], v[2:3], s[38:39]
	v_fma_f64 v[8:9], v[4:5], s[36:37], -v[2:3]
	v_mad_u64_u32 v[2:3], s[0:1], s68, v105, v[0:1]
	s_mul_i32 s0, s69, 0x90
	s_nop 0
	v_add_u32_e32 v3, s0, v3
	global_load_dwordx4 v[2:5], v[2:3], off
	ds_write_b128 v100, v[6:9] offset:128
	s_waitcnt vmcnt(0)
	v_mul_f64 v[6:7], v[4:5], s[42:43]
	v_fmac_f64_e32 v[6:7], s[40:41], v[2:3]
	v_mul_f64 v[2:3], v[2:3], s[42:43]
	v_fma_f64 v[8:9], v[4:5], s[40:41], -v[2:3]
	v_mad_u64_u32 v[2:3], s[0:1], s68, v108, v[0:1]
	s_mul_i32 s0, s69, 0xa0
	s_nop 0
	v_add_u32_e32 v3, s0, v3
	global_load_dwordx4 v[2:5], v[2:3], off
	ds_write_b128 v100, v[6:9] offset:144
	s_waitcnt vmcnt(0)
	;; [unrolled: 11-line block ×6, first 2 shown]
	v_mul_f64 v[6:7], v[4:5], s[62:63]
	v_fmac_f64_e32 v[6:7], s[60:61], v[2:3]
	v_mul_f64 v[2:3], v[2:3], s[62:63]
	v_fma_f64 v[8:9], v[4:5], s[60:61], -v[2:3]
	v_mad_u64_u32 v[2:3], s[0:1], s68, v107, v[0:1]
	s_mul_i32 s0, s69, 0xf0
	s_nop 0
	v_add_u32_e32 v3, s0, v3
	global_load_dwordx4 v[2:5], v[2:3], off
	ds_write_b128 v100, v[6:9] offset:224
	s_lshl_b64 s[0:1], s[68:69], 8
	v_lshl_add_u64 v[0:1], v[0:1], 0, s[0:1]
	s_mov_b32 s0, 0x6c9a05f6
	s_mov_b32 s1, 0xbfe9895b
	s_mov_b32 s69, 0x3fc7851a
	s_mov_b32 s68, s70
	s_mov_b32 s22, s0
	s_waitcnt vmcnt(0)
	v_mul_f64 v[6:7], v[4:5], s[66:67]
	v_fmac_f64_e32 v[6:7], s[64:65], v[2:3]
	v_mul_f64 v[2:3], v[2:3], s[66:67]
	v_fma_f64 v[8:9], v[4:5], s[64:65], -v[2:3]
	global_load_dwordx4 v[0:3], v[0:1], off
	ds_write_b128 v100, v[6:9] offset:240
	s_waitcnt vmcnt(0)
	v_mul_f64 v[4:5], v[2:3], s[74:75]
	v_fmac_f64_e32 v[4:5], s[72:73], v[0:1]
	v_mul_f64 v[0:1], v[0:1], s[74:75]
	v_fma_f64 v[6:7], v[2:3], s[72:73], -v[0:1]
	ds_write_b128 v100, v[4:7] offset:256
	s_waitcnt lgkmcnt(0)
	s_barrier
	ds_read_b128 v[52:55], v100
	ds_read_b128 v[60:63], v100 offset:16
	ds_read_b128 v[48:51], v100 offset:32
	;; [unrolled: 1-line block ×16, first 2 shown]
	s_waitcnt lgkmcnt(14)
	v_add_f64 v[0:1], v[52:53], v[60:61]
	v_add_f64 v[2:3], v[54:55], v[62:63]
	;; [unrolled: 1-line block ×4, first 2 shown]
	s_waitcnt lgkmcnt(13)
	v_add_f64 v[0:1], v[0:1], v[40:41]
	v_add_f64 v[2:3], v[2:3], v[42:43]
	s_waitcnt lgkmcnt(12)
	v_add_f64 v[0:1], v[0:1], v[36:37]
	v_add_f64 v[2:3], v[2:3], v[38:39]
	;; [unrolled: 3-line block ×12, first 2 shown]
	s_waitcnt lgkmcnt(1)
	v_add_f64 v[0:1], v[0:1], v[64:65]
	s_waitcnt lgkmcnt(0)
	v_add_f64 v[78:79], v[62:63], v[74:75]
	v_add_f64 v[62:63], v[62:63], -v[74:75]
	v_add_f64 v[2:3], v[2:3], v[66:67]
	v_add_f64 v[0:1], v[0:1], v[72:73]
	;; [unrolled: 1-line block ×3, first 2 shown]
	v_add_f64 v[60:61], v[60:61], -v[72:73]
	v_mul_f64 v[72:73], v[62:63], s[24:25]
	v_mul_f64 v[84:85], v[62:63], s[18:19]
	v_mul_f64 v[92:93], v[62:63], s[14:15]
	v_mul_f64 v[112:113], v[62:63], s[90:91]
	v_mul_f64 v[120:121], v[62:63], s[92:93]
	v_mul_f64 v[128:129], v[62:63], s[0:1]
	v_mul_f64 v[136:137], v[62:63], s[20:21]
	v_mul_f64 v[62:63], v[62:63], s[70:71]
	v_add_f64 v[2:3], v[2:3], v[74:75]
	v_fma_f64 v[74:75], v[76:77], s[4:5], -v[72:73]
	v_mul_f64 v[80:81], v[60:61], s[24:25]
	v_fmac_f64_e32 v[72:73], s[4:5], v[76:77]
	v_fma_f64 v[86:87], v[76:77], s[8:9], -v[84:85]
	v_mul_f64 v[88:89], v[60:61], s[18:19]
	v_fmac_f64_e32 v[84:85], s[8:9], v[76:77]
	;; [unrolled: 3-line block ×8, first 2 shown]
	v_add_f64 v[74:75], v[52:53], v[74:75]
	v_fma_f64 v[82:83], s[4:5], v[78:79], v[80:81]
	v_add_f64 v[72:73], v[52:53], v[72:73]
	v_fma_f64 v[80:81], v[78:79], s[4:5], -v[80:81]
	v_add_f64 v[86:87], v[52:53], v[86:87]
	v_fma_f64 v[90:91], s[8:9], v[78:79], v[88:89]
	v_add_f64 v[84:85], v[52:53], v[84:85]
	v_fma_f64 v[88:89], v[78:79], s[8:9], -v[88:89]
	;; [unrolled: 4-line block ×8, first 2 shown]
	v_add_f64 v[62:63], v[50:51], v[66:67]
	v_add_f64 v[50:51], v[50:51], -v[66:67]
	v_add_f64 v[82:83], v[54:55], v[82:83]
	v_add_f64 v[80:81], v[54:55], v[80:81]
	;; [unrolled: 1-line block ×17, first 2 shown]
	v_add_f64 v[48:49], v[48:49], -v[64:65]
	v_mul_f64 v[64:65], v[50:51], s[18:19]
	v_fma_f64 v[66:67], v[60:61], s[8:9], -v[64:65]
	v_add_f64 v[66:67], v[66:67], v[74:75]
	v_mul_f64 v[74:75], v[48:49], s[18:19]
	v_fmac_f64_e32 v[64:65], s[8:9], v[60:61]
	v_fma_f64 v[76:77], s[8:9], v[62:63], v[74:75]
	v_add_f64 v[64:65], v[64:65], v[72:73]
	v_fma_f64 v[72:73], v[62:63], s[8:9], -v[74:75]
	v_mul_f64 v[74:75], v[50:51], s[90:91]
	v_add_f64 v[72:73], v[72:73], v[80:81]
	v_fma_f64 v[78:79], v[60:61], s[34:35], -v[74:75]
	v_mul_f64 v[80:81], v[48:49], s[90:91]
	v_fmac_f64_e32 v[74:75], s[34:35], v[60:61]
	v_add_f64 v[76:77], v[76:77], v[82:83]
	v_fma_f64 v[82:83], s[34:35], v[62:63], v[80:81]
	v_add_f64 v[74:75], v[74:75], v[84:85]
	v_fma_f64 v[80:81], v[62:63], s[34:35], -v[80:81]
	v_mul_f64 v[84:85], v[50:51], s[0:1]
	v_add_f64 v[78:79], v[78:79], v[86:87]
	v_add_f64 v[80:81], v[80:81], v[88:89]
	v_fma_f64 v[86:87], v[60:61], s[10:11], -v[84:85]
	v_mul_f64 v[88:89], v[48:49], s[0:1]
	v_fmac_f64_e32 v[84:85], s[10:11], v[60:61]
	v_add_f64 v[82:83], v[82:83], v[90:91]
	v_fma_f64 v[90:91], s[10:11], v[62:63], v[88:89]
	v_add_f64 v[84:85], v[84:85], v[92:93]
	v_fma_f64 v[88:89], v[62:63], s[10:11], -v[88:89]
	v_mul_f64 v[92:93], v[50:51], s[70:71]
	v_add_f64 v[86:87], v[86:87], v[94:95]
	;; [unrolled: 10-line block ×5, first 2 shown]
	v_add_f64 v[124:125], v[124:125], v[132:133]
	v_fma_f64 v[130:131], v[60:61], s[96:97], -v[128:129]
	v_mul_f64 v[132:133], v[48:49], s[98:99]
	v_mul_f64 v[48:49], v[48:49], vcc
	v_add_f64 v[130:131], v[130:131], v[138:139]
	v_fmac_f64_e32 v[128:129], s[96:97], v[60:61]
	v_mul_f64 v[50:51], v[50:51], vcc
	v_fma_f64 v[138:139], s[4:5], v[62:63], v[48:49]
	v_fma_f64 v[48:49], v[62:63], s[4:5], -v[48:49]
	v_add_f64 v[128:129], v[128:129], v[136:137]
	v_fma_f64 v[136:137], v[60:61], s[4:5], -v[50:51]
	v_fmac_f64_e32 v[50:51], s[4:5], v[60:61]
	v_add_f64 v[48:49], v[48:49], v[54:55]
	v_add_f64 v[54:55], v[42:43], v[58:59]
	v_add_f64 v[42:43], v[42:43], -v[58:59]
	v_add_f64 v[50:51], v[50:51], v[52:53]
	v_add_f64 v[52:53], v[40:41], v[56:57]
	v_add_f64 v[40:41], v[40:41], -v[56:57]
	v_mul_f64 v[56:57], v[42:43], s[14:15]
	v_fma_f64 v[58:59], v[52:53], s[96:97], -v[56:57]
	v_fmac_f64_e32 v[56:57], s[96:97], v[52:53]
	v_mul_f64 v[60:61], v[40:41], s[14:15]
	v_add_f64 v[56:57], v[56:57], v[64:65]
	v_mul_f64 v[64:65], v[42:43], s[0:1]
	v_add_f64 v[126:127], v[126:127], v[134:135]
	v_fma_f64 v[134:135], s[96:97], v[62:63], v[132:133]
	v_fma_f64 v[132:133], v[62:63], s[96:97], -v[132:133]
	v_add_f64 v[58:59], v[58:59], v[66:67]
	v_fma_f64 v[62:63], s[96:97], v[54:55], v[60:61]
	v_fma_f64 v[60:61], v[54:55], s[96:97], -v[60:61]
	v_fma_f64 v[66:67], v[52:53], s[10:11], -v[64:65]
	v_fmac_f64_e32 v[64:65], s[10:11], v[52:53]
	v_add_f64 v[60:61], v[60:61], v[72:73]
	v_mul_f64 v[72:73], v[40:41], s[0:1]
	v_add_f64 v[64:65], v[64:65], v[74:75]
	v_mul_f64 v[74:75], v[42:43], s[68:69]
	v_add_f64 v[62:63], v[62:63], v[76:77]
	v_add_f64 v[66:67], v[66:67], v[78:79]
	v_fma_f64 v[76:77], s[10:11], v[54:55], v[72:73]
	v_fma_f64 v[72:73], v[54:55], s[10:11], -v[72:73]
	v_fma_f64 v[78:79], v[52:53], s[2:3], -v[74:75]
	v_fmac_f64_e32 v[74:75], s[2:3], v[52:53]
	v_add_f64 v[72:73], v[72:73], v[80:81]
	v_mul_f64 v[80:81], v[40:41], s[68:69]
	v_add_f64 v[74:75], v[74:75], v[84:85]
	v_mul_f64 v[84:85], v[42:43], s[16:17]
	v_add_f64 v[76:77], v[76:77], v[82:83]
	;; [unrolled: 10-line block ×5, first 2 shown]
	v_add_f64 v[114:115], v[114:115], v[122:123]
	v_fma_f64 v[118:119], s[4:5], v[54:55], v[116:117]
	v_fma_f64 v[116:117], v[54:55], s[4:5], -v[116:117]
	v_fma_f64 v[122:123], v[52:53], s[34:35], -v[120:121]
	v_fmac_f64_e32 v[120:121], s[34:35], v[52:53]
	v_mul_f64 v[42:43], v[42:43], s[20:21]
	v_add_f64 v[116:117], v[116:117], v[124:125]
	v_mul_f64 v[124:125], v[40:41], s[90:91]
	v_add_f64 v[120:121], v[120:121], v[128:129]
	v_fma_f64 v[128:129], v[52:53], s[6:7], -v[42:43]
	v_mul_f64 v[40:41], v[40:41], s[20:21]
	v_fmac_f64_e32 v[42:43], s[6:7], v[52:53]
	v_add_f64 v[122:123], v[122:123], v[130:131]
	v_fma_f64 v[130:131], s[6:7], v[54:55], v[40:41]
	v_add_f64 v[42:43], v[42:43], v[50:51]
	v_fma_f64 v[40:41], v[54:55], s[6:7], -v[40:41]
	v_add_f64 v[50:51], v[38:39], v[46:47]
	v_add_f64 v[38:39], v[38:39], -v[46:47]
	v_add_f64 v[40:41], v[40:41], v[48:49]
	v_add_f64 v[48:49], v[36:37], v[44:45]
	v_add_f64 v[36:37], v[36:37], -v[44:45]
	v_mul_f64 v[44:45], v[38:39], s[90:91]
	v_fma_f64 v[46:47], v[48:49], s[34:35], -v[44:45]
	v_fmac_f64_e32 v[44:45], s[34:35], v[48:49]
	v_mul_f64 v[52:53], v[36:37], s[90:91]
	v_add_f64 v[44:45], v[44:45], v[56:57]
	v_mul_f64 v[56:57], v[38:39], s[70:71]
	v_add_f64 v[118:119], v[118:119], v[126:127]
	v_fma_f64 v[126:127], s[34:35], v[54:55], v[124:125]
	v_fma_f64 v[124:125], v[54:55], s[34:35], -v[124:125]
	v_add_f64 v[46:47], v[46:47], v[58:59]
	v_fma_f64 v[54:55], s[34:35], v[50:51], v[52:53]
	v_fma_f64 v[52:53], v[50:51], s[34:35], -v[52:53]
	v_fma_f64 v[58:59], v[48:49], s[2:3], -v[56:57]
	v_fmac_f64_e32 v[56:57], s[2:3], v[48:49]
	v_add_f64 v[52:53], v[52:53], v[60:61]
	v_mul_f64 v[60:61], v[36:37], s[70:71]
	v_add_f64 v[56:57], v[56:57], v[64:65]
	v_mul_f64 v[64:65], v[38:39], s[16:17]
	v_add_f64 v[54:55], v[54:55], v[62:63]
	v_add_f64 v[58:59], v[58:59], v[66:67]
	v_fma_f64 v[62:63], s[2:3], v[50:51], v[60:61]
	v_fma_f64 v[60:61], v[50:51], s[2:3], -v[60:61]
	v_fma_f64 v[66:67], v[48:49], s[94:95], -v[64:65]
	v_fmac_f64_e32 v[64:65], s[94:95], v[48:49]
	v_add_f64 v[60:61], v[60:61], v[72:73]
	v_mul_f64 v[72:73], v[36:37], s[16:17]
	v_add_f64 v[64:65], v[64:65], v[74:75]
	v_mul_f64 v[74:75], v[38:39], vcc
	v_add_f64 v[62:63], v[62:63], v[76:77]
	v_add_f64 v[66:67], v[66:67], v[78:79]
	v_fma_f64 v[76:77], s[94:95], v[50:51], v[72:73]
	v_fma_f64 v[72:73], v[50:51], s[94:95], -v[72:73]
	v_fma_f64 v[78:79], v[48:49], s[4:5], -v[74:75]
	v_fmac_f64_e32 v[74:75], s[4:5], v[48:49]
	v_add_f64 v[72:73], v[72:73], v[80:81]
	v_mul_f64 v[80:81], v[36:37], vcc
	v_add_f64 v[74:75], v[74:75], v[84:85]
	v_mul_f64 v[84:85], v[38:39], s[14:15]
	v_add_f64 v[76:77], v[76:77], v[82:83]
	v_add_f64 v[78:79], v[78:79], v[86:87]
	v_fma_f64 v[82:83], s[4:5], v[50:51], v[80:81]
	v_fma_f64 v[80:81], v[50:51], s[4:5], -v[80:81]
	v_fma_f64 v[86:87], v[48:49], s[96:97], -v[84:85]
	v_fmac_f64_e32 v[84:85], s[96:97], v[48:49]
	v_add_f64 v[80:81], v[80:81], v[88:89]
	v_mul_f64 v[88:89], v[36:37], s[14:15]
	v_add_f64 v[84:85], v[84:85], v[92:93]
	v_mul_f64 v[92:93], v[38:39], s[20:21]
	v_add_f64 v[82:83], v[82:83], v[90:91]
	v_add_f64 v[86:87], v[86:87], v[94:95]
	v_fma_f64 v[90:91], s[96:97], v[50:51], v[88:89]
	v_fma_f64 v[88:89], v[50:51], s[96:97], -v[88:89]
	v_fma_f64 v[94:95], v[48:49], s[6:7], -v[92:93]
	v_fmac_f64_e32 v[92:93], s[6:7], v[48:49]
	v_add_f64 v[88:89], v[88:89], v[96:97]
	v_mul_f64 v[96:97], v[36:37], s[20:21]
	v_add_f64 v[92:93], v[92:93], v[112:113]
	v_mul_f64 v[112:113], v[38:39], s[22:23]
	v_add_f64 v[90:91], v[90:91], v[98:99]
	v_add_f64 v[94:95], v[94:95], v[114:115]
	v_fma_f64 v[98:99], s[6:7], v[50:51], v[96:97]
	v_fma_f64 v[96:97], v[50:51], s[6:7], -v[96:97]
	v_fma_f64 v[114:115], v[48:49], s[10:11], -v[112:113]
	v_fmac_f64_e32 v[112:113], s[10:11], v[48:49]
	v_mul_f64 v[38:39], v[38:39], s[12:13]
	v_add_f64 v[96:97], v[96:97], v[116:117]
	v_mul_f64 v[116:117], v[36:37], s[22:23]
	v_add_f64 v[112:113], v[112:113], v[120:121]
	v_fma_f64 v[120:121], v[48:49], s[8:9], -v[38:39]
	v_mul_f64 v[36:37], v[36:37], s[12:13]
	v_fmac_f64_e32 v[38:39], s[8:9], v[48:49]
	v_add_f64 v[114:115], v[114:115], v[122:123]
	v_fma_f64 v[122:123], s[8:9], v[50:51], v[36:37]
	v_add_f64 v[38:39], v[38:39], v[42:43]
	v_fma_f64 v[36:37], v[50:51], s[8:9], -v[36:37]
	v_add_f64 v[42:43], v[30:31], v[34:35]
	v_add_f64 v[30:31], v[30:31], -v[34:35]
	v_add_f64 v[36:37], v[36:37], v[40:41]
	v_add_f64 v[40:41], v[28:29], v[32:33]
	v_add_f64 v[28:29], v[28:29], -v[32:33]
	v_mul_f64 v[32:33], v[30:31], s[92:93]
	v_fma_f64 v[34:35], v[40:41], s[94:95], -v[32:33]
	v_add_f64 v[34:35], v[34:35], v[46:47]
	v_mul_f64 v[46:47], v[28:29], s[92:93]
	v_fmac_f64_e32 v[32:33], s[94:95], v[40:41]
	v_fma_f64 v[48:49], s[94:95], v[42:43], v[46:47]
	v_add_f64 v[32:33], v[32:33], v[44:45]
	v_fma_f64 v[44:45], v[42:43], s[94:95], -v[46:47]
	v_mul_f64 v[46:47], v[30:31], s[88:89]
	v_add_f64 v[98:99], v[98:99], v[118:119]
	v_fma_f64 v[118:119], s[10:11], v[50:51], v[116:117]
	v_fma_f64 v[116:117], v[50:51], s[10:11], -v[116:117]
	v_fma_f64 v[50:51], v[40:41], s[6:7], -v[46:47]
	v_fmac_f64_e32 v[46:47], s[6:7], v[40:41]
	v_add_f64 v[44:45], v[44:45], v[52:53]
	v_mul_f64 v[52:53], v[28:29], s[88:89]
	v_add_f64 v[46:47], v[46:47], v[56:57]
	v_mul_f64 v[56:57], v[30:31], s[12:13]
	v_add_f64 v[48:49], v[48:49], v[54:55]
	v_add_f64 v[50:51], v[50:51], v[58:59]
	v_fma_f64 v[54:55], s[6:7], v[42:43], v[52:53]
	v_fma_f64 v[52:53], v[42:43], s[6:7], -v[52:53]
	v_fma_f64 v[58:59], v[40:41], s[8:9], -v[56:57]
	v_fmac_f64_e32 v[56:57], s[8:9], v[40:41]
	v_add_f64 v[52:53], v[52:53], v[60:61]
	v_mul_f64 v[60:61], v[28:29], s[12:13]
	v_add_f64 v[56:57], v[56:57], v[64:65]
	v_mul_f64 v[64:65], v[30:31], s[14:15]
	v_add_f64 v[54:55], v[54:55], v[62:63]
	;; [unrolled: 10-line block ×3, first 2 shown]
	v_add_f64 v[66:67], v[66:67], v[78:79]
	v_fma_f64 v[76:77], s[96:97], v[42:43], v[72:73]
	v_fma_f64 v[72:73], v[42:43], s[96:97], -v[72:73]
	v_fma_f64 v[78:79], v[40:41], s[2:3], -v[74:75]
	v_fmac_f64_e32 v[74:75], s[2:3], v[40:41]
	s_mov_b32 s15, 0x3fefdd0d
	s_mov_b32 s14, s90
	v_add_f64 v[72:73], v[72:73], v[80:81]
	v_mul_f64 v[80:81], v[28:29], s[70:71]
	v_add_f64 v[74:75], v[74:75], v[84:85]
	v_mul_f64 v[84:85], v[30:31], s[14:15]
	v_add_f64 v[76:77], v[76:77], v[82:83]
	v_add_f64 v[78:79], v[78:79], v[86:87]
	v_fma_f64 v[82:83], s[2:3], v[42:43], v[80:81]
	v_fma_f64 v[80:81], v[42:43], s[2:3], -v[80:81]
	v_fma_f64 v[86:87], v[40:41], s[34:35], -v[84:85]
	v_fmac_f64_e32 v[84:85], s[34:35], v[40:41]
	v_add_f64 v[80:81], v[80:81], v[88:89]
	v_mul_f64 v[88:89], v[28:29], s[14:15]
	v_add_f64 v[84:85], v[84:85], v[92:93]
	v_mul_f64 v[92:93], v[30:31], s[24:25]
	v_add_f64 v[82:83], v[82:83], v[90:91]
	v_add_f64 v[86:87], v[86:87], v[94:95]
	v_fma_f64 v[90:91], s[34:35], v[42:43], v[88:89]
	v_fma_f64 v[88:89], v[42:43], s[34:35], -v[88:89]
	v_fma_f64 v[94:95], v[40:41], s[4:5], -v[92:93]
	v_fmac_f64_e32 v[92:93], s[4:5], v[40:41]
	v_mul_f64 v[30:31], v[30:31], s[0:1]
	v_add_f64 v[88:89], v[88:89], v[96:97]
	v_mul_f64 v[96:97], v[28:29], s[24:25]
	v_add_f64 v[92:93], v[92:93], v[112:113]
	v_fma_f64 v[112:113], v[40:41], s[10:11], -v[30:31]
	v_mul_f64 v[28:29], v[28:29], s[0:1]
	v_fmac_f64_e32 v[30:31], s[10:11], v[40:41]
	v_add_f64 v[94:95], v[94:95], v[114:115]
	v_fma_f64 v[114:115], s[10:11], v[42:43], v[28:29]
	v_add_f64 v[30:31], v[30:31], v[38:39]
	v_fma_f64 v[28:29], v[42:43], s[10:11], -v[28:29]
	v_add_f64 v[38:39], v[22:23], v[26:27]
	v_add_f64 v[22:23], v[22:23], -v[26:27]
	v_add_f64 v[28:29], v[28:29], v[36:37]
	v_add_f64 v[36:37], v[20:21], v[24:25]
	v_add_f64 v[20:21], v[20:21], -v[24:25]
	v_mul_f64 v[24:25], v[22:23], s[0:1]
	v_fma_f64 v[26:27], v[36:37], s[10:11], -v[24:25]
	v_add_f64 v[26:27], v[26:27], v[34:35]
	v_mul_f64 v[34:35], v[20:21], s[0:1]
	v_fmac_f64_e32 v[24:25], s[10:11], v[36:37]
	v_fma_f64 v[40:41], s[10:11], v[38:39], v[34:35]
	v_add_f64 v[24:25], v[24:25], v[32:33]
	v_fma_f64 v[32:33], v[38:39], s[10:11], -v[34:35]
	v_mul_f64 v[34:35], v[22:23], s[16:17]
	v_add_f64 v[90:91], v[90:91], v[98:99]
	v_fma_f64 v[98:99], s[4:5], v[42:43], v[96:97]
	v_fma_f64 v[96:97], v[42:43], s[4:5], -v[96:97]
	v_fma_f64 v[42:43], v[36:37], s[94:95], -v[34:35]
	v_fmac_f64_e32 v[34:35], s[94:95], v[36:37]
	v_add_f64 v[32:33], v[32:33], v[44:45]
	v_mul_f64 v[44:45], v[20:21], s[16:17]
	v_add_f64 v[34:35], v[34:35], v[46:47]
	v_mul_f64 v[46:47], v[22:23], s[24:25]
	v_add_f64 v[40:41], v[40:41], v[48:49]
	v_add_f64 v[42:43], v[42:43], v[50:51]
	v_fma_f64 v[48:49], s[94:95], v[38:39], v[44:45]
	v_fma_f64 v[44:45], v[38:39], s[94:95], -v[44:45]
	v_fma_f64 v[50:51], v[36:37], s[4:5], -v[46:47]
	v_fmac_f64_e32 v[46:47], s[4:5], v[36:37]
	v_add_f64 v[44:45], v[44:45], v[52:53]
	v_mul_f64 v[52:53], v[20:21], s[24:25]
	v_add_f64 v[46:47], v[46:47], v[56:57]
	v_mul_f64 v[56:57], v[22:23], s[20:21]
	v_add_f64 v[48:49], v[48:49], v[54:55]
	;; [unrolled: 10-line block ×5, first 2 shown]
	v_add_f64 v[78:79], v[78:79], v[86:87]
	v_fma_f64 v[82:83], s[8:9], v[38:39], v[80:81]
	v_fma_f64 v[80:81], v[38:39], s[8:9], -v[80:81]
	v_fma_f64 v[86:87], v[36:37], s[2:3], -v[84:85]
	v_fmac_f64_e32 v[84:85], s[2:3], v[36:37]
	v_mul_f64 v[22:23], v[22:23], s[98:99]
	v_add_f64 v[80:81], v[80:81], v[88:89]
	v_mul_f64 v[88:89], v[20:21], s[70:71]
	v_add_f64 v[84:85], v[84:85], v[92:93]
	v_fma_f64 v[92:93], v[36:37], s[96:97], -v[22:23]
	v_mul_f64 v[20:21], v[20:21], s[98:99]
	v_fmac_f64_e32 v[22:23], s[96:97], v[36:37]
	v_add_f64 v[86:87], v[86:87], v[94:95]
	v_fma_f64 v[94:95], s[96:97], v[38:39], v[20:21]
	v_add_f64 v[22:23], v[22:23], v[30:31]
	v_fma_f64 v[20:21], v[38:39], s[96:97], -v[20:21]
	v_add_f64 v[30:31], v[14:15], v[18:19]
	v_add_f64 v[14:15], v[14:15], -v[18:19]
	v_add_f64 v[20:21], v[20:21], v[28:29]
	v_add_f64 v[28:29], v[12:13], v[16:17]
	v_add_f64 v[12:13], v[12:13], -v[16:17]
	v_mul_f64 v[16:17], v[14:15], s[20:21]
	v_fma_f64 v[18:19], v[28:29], s[6:7], -v[16:17]
	v_add_f64 v[18:19], v[18:19], v[26:27]
	v_mul_f64 v[26:27], v[12:13], s[20:21]
	v_fmac_f64_e32 v[16:17], s[6:7], v[28:29]
	v_fma_f64 v[36:37], s[6:7], v[30:31], v[26:27]
	v_add_f64 v[16:17], v[16:17], v[24:25]
	v_fma_f64 v[24:25], v[30:31], s[6:7], -v[26:27]
	v_mul_f64 v[26:27], v[14:15], s[98:99]
	v_add_f64 v[82:83], v[82:83], v[90:91]
	v_fma_f64 v[90:91], s[2:3], v[38:39], v[88:89]
	v_fma_f64 v[88:89], v[38:39], s[2:3], -v[88:89]
	v_add_f64 v[24:25], v[24:25], v[32:33]
	v_fma_f64 v[32:33], v[28:29], s[96:97], -v[26:27]
	v_mul_f64 v[38:39], v[12:13], s[98:99]
	v_fmac_f64_e32 v[26:27], s[96:97], v[28:29]
	v_add_f64 v[36:37], v[36:37], v[40:41]
	v_fma_f64 v[40:41], s[96:97], v[30:31], v[38:39]
	v_add_f64 v[26:27], v[26:27], v[34:35]
	v_fma_f64 v[34:35], v[30:31], s[96:97], -v[38:39]
	v_mul_f64 v[38:39], v[14:15], s[90:91]
	v_add_f64 v[32:33], v[32:33], v[42:43]
	v_fma_f64 v[42:43], v[28:29], s[34:35], -v[38:39]
	v_fmac_f64_e32 v[38:39], s[34:35], v[28:29]
	v_add_f64 v[38:39], v[38:39], v[46:47]
	v_mul_f64 v[46:47], v[14:15], s[22:23]
	v_add_f64 v[42:43], v[42:43], v[50:51]
	v_fma_f64 v[50:51], v[28:29], s[10:11], -v[46:47]
	v_fmac_f64_e32 v[46:47], s[10:11], v[28:29]
	v_add_f64 v[34:35], v[34:35], v[44:45]
	v_mul_f64 v[44:45], v[12:13], s[90:91]
	v_add_f64 v[46:47], v[46:47], v[56:57]
	v_mul_f64 v[56:57], v[14:15], s[24:25]
	v_add_f64 v[40:41], v[40:41], v[48:49]
	v_fma_f64 v[48:49], s[34:35], v[30:31], v[44:45]
	v_fma_f64 v[44:45], v[30:31], s[34:35], -v[44:45]
	v_add_f64 v[50:51], v[50:51], v[58:59]
	v_fma_f64 v[58:59], v[28:29], s[4:5], -v[56:57]
	v_fmac_f64_e32 v[56:57], s[4:5], v[28:29]
	v_add_f64 v[134:135], v[134:135], v[142:143]
	v_add_f64 v[136:137], v[136:137], v[144:145]
	;; [unrolled: 1-line block ×3, first 2 shown]
	v_mul_f64 v[52:53], v[12:13], s[22:23]
	v_add_f64 v[56:57], v[56:57], v[64:65]
	v_mul_f64 v[64:65], v[14:15], s[70:71]
	v_add_f64 v[132:133], v[132:133], v[140:141]
	v_add_f64 v[126:127], v[126:127], v[134:135]
	;; [unrolled: 1-line block ×4, first 2 shown]
	v_fma_f64 v[54:55], s[10:11], v[30:31], v[52:53]
	v_fma_f64 v[52:53], v[30:31], s[10:11], -v[52:53]
	v_add_f64 v[58:59], v[58:59], v[66:67]
	v_fma_f64 v[66:67], v[28:29], s[2:3], -v[64:65]
	v_fmac_f64_e32 v[64:65], s[2:3], v[28:29]
	v_add_f64 v[124:125], v[124:125], v[132:133]
	v_add_f64 v[118:119], v[118:119], v[126:127]
	;; [unrolled: 1-line block ×4, first 2 shown]
	v_mul_f64 v[60:61], v[12:13], s[24:25]
	v_add_f64 v[64:65], v[64:65], v[74:75]
	v_mul_f64 v[74:75], v[14:15], s[12:13]
	v_add_f64 v[138:139], v[138:139], v[146:147]
	v_add_f64 v[116:117], v[116:117], v[124:125]
	;; [unrolled: 1-line block ×5, first 2 shown]
	v_fma_f64 v[62:63], s[4:5], v[30:31], v[60:61]
	v_fma_f64 v[60:61], v[30:31], s[4:5], -v[60:61]
	v_add_f64 v[66:67], v[66:67], v[78:79]
	v_fma_f64 v[78:79], v[28:29], s[8:9], -v[74:75]
	v_fmac_f64_e32 v[74:75], s[8:9], v[28:29]
	v_mul_f64 v[14:15], v[14:15], s[92:93]
	v_add_f64 v[130:131], v[130:131], v[138:139]
	v_add_f64 v[96:97], v[96:97], v[116:117]
	;; [unrolled: 1-line block ×5, first 2 shown]
	v_mul_f64 v[72:73], v[12:13], s[70:71]
	v_add_f64 v[74:75], v[74:75], v[84:85]
	v_fma_f64 v[84:85], v[28:29], s[94:95], -v[14:15]
	v_add_f64 v[98:99], v[6:7], -v[10:11]
	v_add_f64 v[122:123], v[122:123], v[130:131]
	v_add_f64 v[88:89], v[88:89], v[96:97]
	;; [unrolled: 1-line block ×3, first 2 shown]
	v_fma_f64 v[76:77], s[2:3], v[30:31], v[72:73]
	v_fma_f64 v[72:73], v[30:31], s[2:3], -v[72:73]
	v_add_f64 v[84:85], v[84:85], v[92:93]
	v_add_f64 v[92:93], v[4:5], v[8:9]
	v_add_f64 v[96:97], v[4:5], -v[8:9]
	v_mul_f64 v[8:9], v[98:99], s[70:71]
	v_add_f64 v[114:115], v[114:115], v[122:123]
	v_add_f64 v[72:73], v[72:73], v[80:81]
	v_mul_f64 v[80:81], v[12:13], s[12:13]
	v_mul_f64 v[12:13], v[12:13], s[92:93]
	v_fma_f64 v[4:5], v[92:93], s[2:3], -v[8:9]
	v_fmac_f64_e32 v[8:9], s[2:3], v[92:93]
	v_writelane_b32 v111, s72, 36
	v_add_f64 v[94:95], v[94:95], v[114:115]
	v_add_f64 v[76:77], v[76:77], v[82:83]
	;; [unrolled: 1-line block ×3, first 2 shown]
	v_fma_f64 v[82:83], s[8:9], v[30:31], v[80:81]
	v_fma_f64 v[86:87], s[94:95], v[30:31], v[12:13]
	v_fma_f64 v[12:13], v[30:31], s[94:95], -v[12:13]
	v_add_f64 v[8:9], v[8:9], v[16:17]
	v_mul_f64 v[16:17], v[98:99], vcc
	v_writelane_b32 v111, s73, 37
	v_add_f64 v[82:83], v[82:83], v[90:91]
	v_add_f64 v[86:87], v[86:87], v[94:95]
	;; [unrolled: 1-line block ×4, first 2 shown]
	v_mul_f64 v[10:11], v[96:97], s[70:71]
	v_fma_f64 v[12:13], v[92:93], s[4:5], -v[16:17]
	v_fmac_f64_e32 v[16:17], s[4:5], v[92:93]
	v_writelane_b32 v111, s74, 38
	v_fma_f64 v[80:81], v[30:31], s[8:9], -v[80:81]
	v_fmac_f64_e32 v[14:15], s[94:95], v[28:29]
	v_add_f64 v[4:5], v[4:5], v[18:19]
	v_fma_f64 v[6:7], s[2:3], v[94:95], v[10:11]
	v_fma_f64 v[10:11], v[94:95], s[2:3], -v[10:11]
	v_mul_f64 v[18:19], v[96:97], vcc
	v_add_f64 v[16:17], v[16:17], v[26:27]
	v_mul_f64 v[26:27], v[96:97], s[20:21]
	v_writelane_b32 v111, s75, 39
	v_add_f64 v[80:81], v[80:81], v[88:89]
	v_add_f64 v[88:89], v[14:15], v[22:23]
	;; [unrolled: 1-line block ×3, first 2 shown]
	v_fma_f64 v[14:15], s[4:5], v[94:95], v[18:19]
	v_mul_f64 v[24:25], v[98:99], s[20:21]
	v_fma_f64 v[22:23], s[6:7], v[94:95], v[26:27]
	v_writelane_b32 v111, s76, 40
	v_add_f64 v[12:13], v[12:13], v[32:33]
	v_add_f64 v[14:15], v[14:15], v[40:41]
	v_fma_f64 v[18:19], v[94:95], s[4:5], -v[18:19]
	v_fma_f64 v[20:21], v[92:93], s[6:7], -v[24:25]
	v_add_f64 v[22:23], v[22:23], v[48:49]
	v_fma_f64 v[26:27], v[94:95], s[6:7], -v[26:27]
	v_mul_f64 v[32:33], v[98:99], s[12:13]
	v_mul_f64 v[40:41], v[98:99], s[0:1]
	;; [unrolled: 1-line block ×3, first 2 shown]
	v_writelane_b32 v111, s77, 41
	v_add_f64 v[6:7], v[6:7], v[36:37]
	v_add_f64 v[18:19], v[18:19], v[34:35]
	;; [unrolled: 1-line block ×3, first 2 shown]
	v_fmac_f64_e32 v[24:25], s[6:7], v[92:93]
	v_add_f64 v[26:27], v[26:27], v[44:45]
	v_fma_f64 v[28:29], v[92:93], s[8:9], -v[32:33]
	v_mul_f64 v[34:35], v[96:97], s[12:13]
	v_fma_f64 v[36:37], v[92:93], s[10:11], -v[40:41]
	v_mul_f64 v[42:43], v[96:97], s[0:1]
	v_fmac_f64_e32 v[40:41], s[10:11], v[92:93]
	v_fma_f64 v[44:45], v[92:93], s[96:97], -v[48:49]
	v_fmac_f64_e32 v[48:49], s[96:97], v[92:93]
	v_writelane_b32 v111, s78, 42
	v_add_f64 v[24:25], v[24:25], v[38:39]
	v_add_f64 v[28:29], v[28:29], v[50:51]
	v_fma_f64 v[30:31], s[8:9], v[94:95], v[34:35]
	v_fmac_f64_e32 v[32:33], s[8:9], v[92:93]
	v_fma_f64 v[34:35], v[94:95], s[8:9], -v[34:35]
	v_add_f64 v[36:37], v[36:37], v[58:59]
	v_fma_f64 v[38:39], s[10:11], v[94:95], v[42:43]
	v_add_f64 v[40:41], v[40:41], v[56:57]
	v_fma_f64 v[42:43], v[94:95], s[10:11], -v[42:43]
	v_add_f64 v[44:45], v[44:45], v[66:67]
	v_mul_f64 v[50:51], v[96:97], s[98:99]
	v_add_f64 v[48:49], v[48:49], v[64:65]
	v_mul_f64 v[56:57], v[98:99], s[92:93]
	v_mul_f64 v[58:59], v[96:97], s[92:93]
	;; [unrolled: 1-line block ×4, first 2 shown]
	v_writelane_b32 v111, s79, 43
	v_add_f64 v[30:31], v[30:31], v[54:55]
	v_add_f64 v[32:33], v[32:33], v[46:47]
	;; [unrolled: 1-line block ×5, first 2 shown]
	v_fma_f64 v[46:47], s[96:97], v[94:95], v[50:51]
	v_fma_f64 v[50:51], v[94:95], s[96:97], -v[50:51]
	v_fma_f64 v[52:53], v[92:93], s[94:95], -v[56:57]
	v_fma_f64 v[54:55], s[94:95], v[94:95], v[58:59]
	v_fmac_f64_e32 v[56:57], s[94:95], v[92:93]
	v_fma_f64 v[58:59], v[94:95], s[94:95], -v[58:59]
	v_fma_f64 v[60:61], v[92:93], s[34:35], -v[64:65]
	v_fma_f64 v[62:63], s[34:35], v[94:95], v[66:67]
	v_fmac_f64_e32 v[64:65], s[34:35], v[92:93]
	v_fma_f64 v[66:67], v[94:95], s[34:35], -v[66:67]
	v_writelane_b32 v111, s80, 44
	v_add_f64 v[46:47], v[46:47], v[76:77]
	v_add_f64 v[50:51], v[50:51], v[72:73]
	v_add_f64 v[52:53], v[52:53], v[78:79]
	v_add_f64 v[54:55], v[54:55], v[82:83]
	v_add_f64 v[56:57], v[56:57], v[74:75]
	v_add_f64 v[58:59], v[58:59], v[80:81]
	v_add_f64 v[60:61], v[60:61], v[84:85]
	v_add_f64 v[62:63], v[62:63], v[86:87]
	v_add_f64 v[64:65], v[64:65], v[88:89]
	v_add_f64 v[66:67], v[66:67], v[90:91]
	ds_write_b128 v100, v[0:3]
	ds_write_b128 v100, v[4:7] offset:16
	ds_write_b128 v100, v[12:15] offset:32
	;; [unrolled: 1-line block ×16, first 2 shown]
	s_waitcnt lgkmcnt(0)
	s_barrier
	ds_read_b128 v[0:3], v100
	ds_read_b128 v[4:7], v100 offset:16
	ds_read_b128 v[8:11], v100 offset:32
	;; [unrolled: 1-line block ×3, first 2 shown]
	v_writelane_b32 v111, s81, 45
	v_writelane_b32 v111, s82, 46
	;; [unrolled: 1-line block ×3, first 2 shown]
	s_waitcnt lgkmcnt(3)
	v_mul_f64 v[16:17], v[2:3], s[78:79]
	v_mul_f64 v[18:19], v[0:1], s[78:79]
	v_writelane_b32 v111, s84, 48
	v_fma_f64 v[16:17], v[0:1], s[76:77], -v[16:17]
	v_fmac_f64_e32 v[18:19], s[76:77], v[2:3]
	s_waitcnt lgkmcnt(2)
	v_mul_f64 v[0:1], v[6:7], s[82:83]
	v_mul_f64 v[2:3], v[4:5], s[82:83]
	v_writelane_b32 v111, s85, 49
	v_fma_f64 v[0:1], v[4:5], s[80:81], -v[0:1]
	v_fmac_f64_e32 v[2:3], s[80:81], v[6:7]
	v_writelane_b32 v111, s86, 50
	ds_write_b128 v100, v[0:3] offset:16
	s_waitcnt lgkmcnt(2)
	v_mul_f64 v[0:1], v[10:11], s[86:87]
	v_mul_f64 v[2:3], v[8:9], s[86:87]
	v_writelane_b32 v111, s87, 51
	v_fma_f64 v[0:1], v[8:9], s[84:85], -v[0:1]
	v_fmac_f64_e32 v[2:3], s[84:85], v[10:11]
	s_load_dwordx16 s[72:87], s[26:27], 0x140
	ds_write_b128 v100, v[0:3] offset:32
	ds_write_b128 v100, v[16:19]
	s_waitcnt lgkmcnt(0)
	v_mul_f64 v[0:1], v[14:15], s[74:75]
	v_mul_f64 v[2:3], v[12:13], s[74:75]
	v_fma_f64 v[0:1], v[12:13], s[72:73], -v[0:1]
	v_fmac_f64_e32 v[2:3], s[72:73], v[14:15]
	ds_write_b128 v100, v[0:3] offset:48
	ds_read_b128 v[0:3], v100 offset:64
	s_waitcnt lgkmcnt(0)
	v_mul_f64 v[4:5], v[2:3], s[78:79]
	v_mul_f64 v[6:7], v[0:1], s[78:79]
	v_fma_f64 v[4:5], v[0:1], s[76:77], -v[4:5]
	v_fmac_f64_e32 v[6:7], s[76:77], v[2:3]
	ds_read_b128 v[0:3], v100 offset:80
	ds_write_b128 v100, v[4:7] offset:64
	s_waitcnt lgkmcnt(1)
	v_mul_f64 v[4:5], v[2:3], s[82:83]
	v_mul_f64 v[6:7], v[0:1], s[82:83]
	v_fma_f64 v[4:5], v[0:1], s[80:81], -v[4:5]
	v_fmac_f64_e32 v[6:7], s[80:81], v[2:3]
	ds_read_b128 v[0:3], v100 offset:96
	ds_write_b128 v100, v[4:7] offset:80
	s_waitcnt lgkmcnt(1)
	v_mul_f64 v[4:5], v[2:3], s[86:87]
	v_mul_f64 v[6:7], v[0:1], s[86:87]
	v_fma_f64 v[4:5], v[0:1], s[84:85], -v[4:5]
	v_fmac_f64_e32 v[6:7], s[84:85], v[2:3]
	ds_read_b128 v[0:3], v100 offset:112
	s_load_dwordx16 s[72:87], s[26:27], 0x180
	ds_write_b128 v100, v[4:7] offset:96
	s_waitcnt lgkmcnt(0)
	v_mul_f64 v[4:5], v[2:3], s[74:75]
	v_mul_f64 v[6:7], v[0:1], s[74:75]
	v_fma_f64 v[4:5], v[0:1], s[72:73], -v[4:5]
	v_fmac_f64_e32 v[6:7], s[72:73], v[2:3]
	ds_read_b128 v[0:3], v100 offset:128
	ds_write_b128 v100, v[4:7] offset:112
	s_waitcnt lgkmcnt(1)
	v_mul_f64 v[4:5], v[2:3], s[78:79]
	v_mul_f64 v[6:7], v[0:1], s[78:79]
	v_fma_f64 v[4:5], v[0:1], s[76:77], -v[4:5]
	v_fmac_f64_e32 v[6:7], s[76:77], v[2:3]
	ds_read_b128 v[0:3], v100 offset:144
	;; [unrolled: 7-line block ×4, first 2 shown]
	s_load_dwordx16 s[72:87], s[26:27], 0x1c0
	ds_write_b128 v100, v[4:7] offset:160
	s_waitcnt lgkmcnt(0)
	v_mul_f64 v[4:5], v[2:3], s[74:75]
	v_mul_f64 v[6:7], v[0:1], s[74:75]
	v_fma_f64 v[4:5], v[0:1], s[72:73], -v[4:5]
	v_fmac_f64_e32 v[6:7], s[72:73], v[2:3]
	ds_read_b128 v[0:3], v100 offset:192
	ds_write_b128 v100, v[4:7] offset:176
	s_waitcnt lgkmcnt(1)
	v_mul_f64 v[4:5], v[2:3], s[78:79]
	v_mul_f64 v[6:7], v[0:1], s[78:79]
	v_fma_f64 v[4:5], v[0:1], s[76:77], -v[4:5]
	v_fmac_f64_e32 v[6:7], s[76:77], v[2:3]
	ds_read_b128 v[0:3], v100 offset:208
	ds_write_b128 v100, v[4:7] offset:192
	s_load_dwordx8 s[72:79], s[26:27], 0x200
	s_waitcnt lgkmcnt(0)
	v_mul_f64 v[4:5], v[2:3], s[82:83]
	v_mul_f64 v[6:7], v[0:1], s[82:83]
	v_fma_f64 v[4:5], v[0:1], s[80:81], -v[4:5]
	v_fmac_f64_e32 v[6:7], s[80:81], v[2:3]
	ds_read_b128 v[0:3], v100 offset:224
	ds_write_b128 v100, v[4:7] offset:208
	s_waitcnt lgkmcnt(1)
	v_mul_f64 v[4:5], v[2:3], s[86:87]
	v_mul_f64 v[6:7], v[0:1], s[86:87]
	v_fma_f64 v[4:5], v[0:1], s[84:85], -v[4:5]
	v_fmac_f64_e32 v[6:7], s[84:85], v[2:3]
	ds_read_b128 v[0:3], v100 offset:240
	ds_write_b128 v100, v[4:7] offset:224
	;; [unrolled: 7-line block ×3, first 2 shown]
	s_mov_b32 s72, 0x7c9e640b
	s_mov_b32 s73, 0xbfeca52d
	;; [unrolled: 1-line block ×3, first 2 shown]
	s_waitcnt lgkmcnt(1)
	v_mul_f64 v[4:5], v[2:3], s[78:79]
	v_mul_f64 v[6:7], v[0:1], s[78:79]
	v_fma_f64 v[4:5], v[0:1], s[76:77], -v[4:5]
	v_fmac_f64_e32 v[6:7], s[76:77], v[2:3]
	ds_write_b128 v100, v[4:7] offset:256
	s_waitcnt lgkmcnt(0)
	s_barrier
	ds_read_b128 v[56:59], v100
	ds_read_b128 v[64:67], v100 offset:16
	ds_read_b128 v[52:55], v100 offset:32
	;; [unrolled: 1-line block ×16, first 2 shown]
	s_waitcnt lgkmcnt(14)
	v_add_f64 v[0:1], v[56:57], v[64:65]
	v_add_f64 v[0:1], v[0:1], v[52:53]
	s_waitcnt lgkmcnt(13)
	v_add_f64 v[0:1], v[0:1], v[44:45]
	s_waitcnt lgkmcnt(12)
	;; [unrolled: 2-line block ×11, first 2 shown]
	v_add_f64 v[118:119], v[66:67], -v[74:75]
	v_add_f64 v[0:1], v[0:1], v[40:41]
	v_add_f64 v[112:113], v[64:65], v[72:73]
	v_add_f64 v[116:117], v[64:65], -v[72:73]
	v_mul_f64 v[64:65], v[118:119], s[24:25]
	v_add_f64 v[2:3], v[58:59], v[66:67]
	v_add_f64 v[0:1], v[0:1], v[48:49]
	;; [unrolled: 1-line block ×3, first 2 shown]
	v_fma_f64 v[66:67], s[4:5], v[112:113], v[64:65]
	v_add_f64 v[2:3], v[2:3], v[54:55]
	v_add_f64 v[0:1], v[0:1], v[60:61]
	;; [unrolled: 1-line block ×3, first 2 shown]
	v_mul_f64 v[66:67], v[114:115], s[4:5]
	v_fma_f64 v[64:65], v[112:113], s[4:5], -v[64:65]
	v_add_f64 v[2:3], v[2:3], v[46:47]
	v_add_f64 v[0:1], v[0:1], v[72:73]
	v_fma_f64 v[72:73], vcc, v[116:117], v[66:67]
	v_add_f64 v[124:125], v[56:57], v[64:65]
	v_fmac_f64_e32 v[66:67], s[24:25], v[116:117]
	v_mul_f64 v[64:65], v[118:119], s[18:19]
	v_add_f64 v[2:3], v[2:3], v[38:39]
	v_add_f64 v[126:127], v[58:59], v[66:67]
	v_fma_f64 v[66:67], s[8:9], v[112:113], v[64:65]
	v_add_f64 v[2:3], v[2:3], v[30:31]
	v_add_f64 v[128:129], v[56:57], v[66:67]
	v_mul_f64 v[66:67], v[114:115], s[8:9]
	v_fma_f64 v[64:65], v[112:113], s[8:9], -v[64:65]
	v_add_f64 v[2:3], v[2:3], v[22:23]
	v_add_f64 v[122:123], v[58:59], v[72:73]
	v_fma_f64 v[72:73], s[12:13], v[116:117], v[66:67]
	v_add_f64 v[132:133], v[56:57], v[64:65]
	v_fmac_f64_e32 v[66:67], s[18:19], v[116:117]
	v_mul_f64 v[64:65], v[118:119], s[72:73]
	v_add_f64 v[2:3], v[2:3], v[14:15]
	v_add_f64 v[134:135], v[58:59], v[66:67]
	v_fma_f64 v[66:67], s[96:97], v[112:113], v[64:65]
	v_add_f64 v[2:3], v[2:3], v[6:7]
	v_add_f64 v[136:137], v[56:57], v[66:67]
	v_mul_f64 v[66:67], v[114:115], s[96:97]
	v_add_f64 v[2:3], v[2:3], v[10:11]
	v_add_f64 v[130:131], v[58:59], v[72:73]
	v_fma_f64 v[72:73], s[98:99], v[116:117], v[66:67]
	v_fmac_f64_e32 v[66:67], s[72:73], v[116:117]
	s_mov_b32 s72, 0xeb564b22
	v_add_f64 v[2:3], v[2:3], v[18:19]
	v_fma_f64 v[64:65], v[112:113], s[96:97], -v[64:65]
	s_mov_b32 s73, 0xbfefdd0d
	v_add_f64 v[2:3], v[2:3], v[26:27]
	v_add_f64 v[140:141], v[56:57], v[64:65]
	v_mul_f64 v[64:65], v[118:119], s[72:73]
	v_add_f64 v[2:3], v[2:3], v[34:35]
	v_add_f64 v[142:143], v[58:59], v[66:67]
	v_fma_f64 v[66:67], s[34:35], v[112:113], v[64:65]
	v_add_f64 v[2:3], v[2:3], v[42:43]
	v_add_f64 v[98:99], v[56:57], v[66:67]
	v_mul_f64 v[66:67], v[114:115], s[34:35]
	s_mov_b32 s75, 0xbfeec746
	v_add_f64 v[2:3], v[2:3], v[50:51]
	v_add_f64 v[138:139], v[58:59], v[72:73]
	v_fma_f64 v[72:73], s[14:15], v[116:117], v[66:67]
	v_mul_f64 v[76:77], v[118:119], s[74:75]
	v_mul_f64 v[86:87], v[118:119], s[0:1]
	;; [unrolled: 1-line block ×4, first 2 shown]
	v_add_f64 v[2:3], v[2:3], v[62:63]
	v_add_f64 v[80:81], v[58:59], v[72:73]
	v_fma_f64 v[64:65], v[112:113], s[34:35], -v[64:65]
	v_fma_f64 v[72:73], s[94:95], v[112:113], v[76:77]
	v_mul_f64 v[78:79], v[114:115], s[94:95]
	v_fma_f64 v[76:77], v[112:113], s[94:95], -v[76:77]
	v_fma_f64 v[82:83], s[10:11], v[112:113], v[86:87]
	v_mul_f64 v[88:89], v[114:115], s[10:11]
	;; [unrolled: 3-line block ×4, first 2 shown]
	v_fma_f64 v[112:113], v[112:113], s[2:3], -v[118:119]
	v_add_f64 v[118:119], v[54:55], v[62:63]
	v_add_f64 v[62:63], v[54:55], -v[62:63]
	v_add_f64 v[2:3], v[2:3], v[74:75]
	v_fmac_f64_e32 v[66:67], s[72:73], v[116:117]
	v_fma_f64 v[74:75], s[16:17], v[116:117], v[78:79]
	v_fmac_f64_e32 v[78:79], s[74:75], v[116:117]
	v_fma_f64 v[84:85], s[22:23], v[116:117], v[88:89]
	;; [unrolled: 2-line block ×4, first 2 shown]
	v_fmac_f64_e32 v[114:115], s[70:71], v[116:117]
	v_add_f64 v[116:117], v[52:53], v[60:61]
	v_add_f64 v[60:61], v[52:53], -v[60:61]
	v_mul_f64 v[52:53], v[62:63], s[18:19]
	v_fma_f64 v[54:55], s[8:9], v[116:117], v[52:53]
	v_add_f64 v[120:121], v[54:55], v[120:121]
	v_mul_f64 v[54:55], v[118:119], s[8:9]
	v_fma_f64 v[52:53], v[116:117], s[8:9], -v[52:53]
	v_add_f64 v[64:65], v[56:57], v[64:65]
	v_add_f64 v[72:73], v[56:57], v[72:73]
	;; [unrolled: 1-line block ×9, first 2 shown]
	v_fma_f64 v[56:57], s[12:13], v[60:61], v[54:55]
	v_add_f64 v[124:125], v[52:53], v[124:125]
	v_fmac_f64_e32 v[54:55], s[18:19], v[60:61]
	v_mul_f64 v[52:53], v[62:63], s[72:73]
	s_mov_b32 s78, 0x6c9a05f6
	v_add_f64 v[126:127], v[54:55], v[126:127]
	v_fma_f64 v[54:55], s[34:35], v[116:117], v[52:53]
	s_mov_b32 s79, 0xbfe9895b
	v_add_f64 v[128:129], v[54:55], v[128:129]
	v_mul_f64 v[54:55], v[118:119], s[34:35]
	v_fma_f64 v[52:53], v[116:117], s[34:35], -v[52:53]
	v_add_f64 v[122:123], v[56:57], v[122:123]
	v_fma_f64 v[56:57], s[14:15], v[60:61], v[54:55]
	v_add_f64 v[132:133], v[52:53], v[132:133]
	v_fmac_f64_e32 v[54:55], s[72:73], v[60:61]
	v_mul_f64 v[52:53], v[62:63], s[78:79]
	v_add_f64 v[134:135], v[54:55], v[134:135]
	v_fma_f64 v[54:55], s[10:11], v[116:117], v[52:53]
	v_add_f64 v[66:67], v[58:59], v[66:67]
	v_add_f64 v[74:75], v[58:59], v[74:75]
	;; [unrolled: 1-line block ×10, first 2 shown]
	v_mul_f64 v[54:55], v[118:119], s[10:11]
	v_add_f64 v[130:131], v[56:57], v[130:131]
	v_fma_f64 v[56:57], s[22:23], v[60:61], v[54:55]
	v_mul_f64 v[136:137], v[62:63], s[70:71]
	v_add_f64 v[56:57], v[56:57], v[138:139]
	v_fma_f64 v[138:139], s[2:3], v[116:117], v[136:137]
	v_fma_f64 v[52:53], v[116:117], s[10:11], -v[52:53]
	v_add_f64 v[98:99], v[138:139], v[98:99]
	v_mul_f64 v[138:139], v[118:119], s[2:3]
	v_fma_f64 v[136:137], v[116:117], s[2:3], -v[136:137]
	v_add_f64 v[52:53], v[52:53], v[140:141]
	v_fma_f64 v[140:141], s[68:69], v[60:61], v[138:139]
	v_add_f64 v[64:65], v[136:137], v[64:65]
	v_fmac_f64_e32 v[138:139], s[70:71], v[60:61]
	v_mul_f64 v[136:137], v[62:63], s[88:89]
	v_add_f64 v[66:67], v[138:139], v[66:67]
	v_fma_f64 v[138:139], s[6:7], v[116:117], v[136:137]
	v_add_f64 v[72:73], v[138:139], v[72:73]
	v_mul_f64 v[138:139], v[118:119], s[6:7]
	v_fma_f64 v[136:137], v[116:117], s[6:7], -v[136:137]
	v_add_f64 v[80:81], v[140:141], v[80:81]
	v_fma_f64 v[140:141], s[20:21], v[60:61], v[138:139]
	v_add_f64 v[76:77], v[136:137], v[76:77]
	v_fmac_f64_e32 v[138:139], s[88:89], v[60:61]
	v_mul_f64 v[136:137], v[62:63], s[16:17]
	v_add_f64 v[78:79], v[138:139], v[78:79]
	v_fma_f64 v[138:139], s[94:95], v[116:117], v[136:137]
	v_add_f64 v[82:83], v[138:139], v[82:83]
	v_mul_f64 v[138:139], v[118:119], s[94:95]
	v_fma_f64 v[136:137], v[116:117], s[94:95], -v[136:137]
	v_add_f64 v[74:75], v[140:141], v[74:75]
	v_fma_f64 v[140:141], s[74:75], v[60:61], v[138:139]
	v_add_f64 v[86:87], v[136:137], v[86:87]
	v_fmac_f64_e32 v[138:139], s[16:17], v[60:61]
	v_mul_f64 v[136:137], v[62:63], s[98:99]
	s_mov_b32 s76, 0x7c9e640b
	v_add_f64 v[88:89], v[138:139], v[88:89]
	v_fma_f64 v[138:139], s[96:97], v[116:117], v[136:137]
	s_mov_b32 s77, 0xbfeca52d
	v_add_f64 v[90:91], v[138:139], v[90:91]
	v_mul_f64 v[138:139], v[118:119], s[96:97]
	v_add_f64 v[84:85], v[140:141], v[84:85]
	v_fma_f64 v[140:141], s[76:77], v[60:61], v[138:139]
	v_fmac_f64_e32 v[138:139], s[98:99], v[60:61]
	v_mul_f64 v[118:119], v[118:119], s[4:5]
	v_fma_f64 v[136:137], v[116:117], s[96:97], -v[136:137]
	v_add_f64 v[96:97], v[138:139], v[96:97]
	v_mul_f64 v[62:63], v[62:63], vcc
	v_fma_f64 v[138:139], s[24:25], v[60:61], v[118:119]
	v_fmac_f64_e32 v[118:119], vcc, v[60:61]
	v_fmac_f64_e32 v[54:55], s[78:79], v[60:61]
	v_add_f64 v[94:95], v[136:137], v[94:95]
	v_fma_f64 v[136:137], s[4:5], v[116:117], v[62:63]
	v_fma_f64 v[62:63], v[116:117], s[4:5], -v[62:63]
	v_add_f64 v[60:61], v[118:119], v[114:115]
	v_add_f64 v[118:119], v[46:47], -v[50:51]
	v_add_f64 v[62:63], v[62:63], v[112:113]
	v_add_f64 v[112:113], v[44:45], v[48:49]
	v_add_f64 v[116:117], v[44:45], -v[48:49]
	v_mul_f64 v[44:45], v[118:119], s[76:77]
	v_add_f64 v[114:115], v[46:47], v[50:51]
	v_fma_f64 v[46:47], s[96:97], v[112:113], v[44:45]
	v_add_f64 v[120:121], v[46:47], v[120:121]
	v_mul_f64 v[46:47], v[114:115], s[96:97]
	v_fma_f64 v[44:45], v[112:113], s[96:97], -v[44:45]
	v_fma_f64 v[48:49], s[98:99], v[116:117], v[46:47]
	v_add_f64 v[124:125], v[44:45], v[124:125]
	v_fmac_f64_e32 v[46:47], s[76:77], v[116:117]
	v_mul_f64 v[44:45], v[118:119], s[78:79]
	v_add_f64 v[126:127], v[46:47], v[126:127]
	v_fma_f64 v[46:47], s[10:11], v[112:113], v[44:45]
	v_add_f64 v[50:51], v[46:47], v[128:129]
	v_mul_f64 v[46:47], v[114:115], s[10:11]
	v_add_f64 v[122:123], v[48:49], v[122:123]
	v_fma_f64 v[48:49], s[22:23], v[116:117], v[46:47]
	v_mul_f64 v[128:129], v[118:119], s[68:69]
	v_add_f64 v[48:49], v[48:49], v[130:131]
	v_fma_f64 v[130:131], s[2:3], v[112:113], v[128:129]
	v_fma_f64 v[44:45], v[112:113], s[10:11], -v[44:45]
	v_add_f64 v[58:59], v[130:131], v[58:59]
	v_mul_f64 v[130:131], v[114:115], s[2:3]
	v_fma_f64 v[128:129], v[112:113], s[2:3], -v[128:129]
	v_add_f64 v[54:55], v[54:55], v[142:143]
	v_add_f64 v[44:45], v[44:45], v[132:133]
	v_fma_f64 v[132:133], s[70:71], v[116:117], v[130:131]
	v_add_f64 v[52:53], v[128:129], v[52:53]
	v_fmac_f64_e32 v[130:131], s[68:69], v[116:117]
	v_mul_f64 v[128:129], v[118:119], s[16:17]
	v_add_f64 v[54:55], v[130:131], v[54:55]
	v_fma_f64 v[130:131], s[94:95], v[112:113], v[128:129]
	v_add_f64 v[98:99], v[130:131], v[98:99]
	v_mul_f64 v[130:131], v[114:115], s[94:95]
	v_fma_f64 v[128:129], v[112:113], s[94:95], -v[128:129]
	v_add_f64 v[56:57], v[132:133], v[56:57]
	v_fma_f64 v[132:133], s[74:75], v[116:117], v[130:131]
	v_add_f64 v[64:65], v[128:129], v[64:65]
	v_fmac_f64_e32 v[130:131], s[16:17], v[116:117]
	v_mul_f64 v[128:129], v[118:119], s[12:13]
	v_add_f64 v[66:67], v[130:131], v[66:67]
	v_fma_f64 v[130:131], s[8:9], v[112:113], v[128:129]
	v_add_f64 v[72:73], v[130:131], v[72:73]
	v_mul_f64 v[130:131], v[114:115], s[8:9]
	v_fma_f64 v[128:129], v[112:113], s[8:9], -v[128:129]
	;; [unrolled: 10-line block ×3, first 2 shown]
	v_add_f64 v[74:75], v[132:133], v[74:75]
	v_fma_f64 v[132:133], vcc, v[116:117], v[130:131]
	v_add_f64 v[86:87], v[128:129], v[86:87]
	v_fmac_f64_e32 v[130:131], s[24:25], v[116:117]
	v_mul_f64 v[128:129], v[118:119], s[72:73]
	v_add_f64 v[88:89], v[130:131], v[88:89]
	v_fma_f64 v[130:131], s[34:35], v[112:113], v[128:129]
	v_add_f64 v[90:91], v[130:131], v[90:91]
	v_mul_f64 v[130:131], v[114:115], s[34:35]
	v_add_f64 v[84:85], v[132:133], v[84:85]
	v_fma_f64 v[132:133], s[14:15], v[116:117], v[130:131]
	v_fma_f64 v[128:129], v[112:113], s[34:35], -v[128:129]
	v_fmac_f64_e32 v[130:131], s[72:73], v[116:117]
	v_mul_f64 v[118:119], v[118:119], s[20:21]
	v_mul_f64 v[114:115], v[114:115], s[6:7]
	v_add_f64 v[94:95], v[128:129], v[94:95]
	v_add_f64 v[96:97], v[130:131], v[96:97]
	v_fma_f64 v[128:129], s[6:7], v[112:113], v[118:119]
	v_fma_f64 v[130:131], s[88:89], v[116:117], v[114:115]
	v_fma_f64 v[112:113], v[112:113], s[6:7], -v[118:119]
	v_fmac_f64_e32 v[114:115], s[20:21], v[116:117]
	v_add_f64 v[118:119], v[38:39], -v[42:43]
	v_fmac_f64_e32 v[46:47], s[78:79], v[116:117]
	v_add_f64 v[62:63], v[112:113], v[62:63]
	v_add_f64 v[112:113], v[114:115], v[60:61]
	;; [unrolled: 1-line block ×3, first 2 shown]
	v_add_f64 v[116:117], v[36:37], -v[40:41]
	v_mul_f64 v[36:37], v[118:119], s[72:73]
	v_add_f64 v[114:115], v[38:39], v[42:43]
	v_fma_f64 v[38:39], s[34:35], v[60:61], v[36:37]
	v_add_f64 v[120:121], v[38:39], v[120:121]
	v_mul_f64 v[38:39], v[114:115], s[34:35]
	v_fma_f64 v[36:37], v[60:61], s[34:35], -v[36:37]
	v_fma_f64 v[40:41], s[14:15], v[116:117], v[38:39]
	v_add_f64 v[124:125], v[36:37], v[124:125]
	v_fmac_f64_e32 v[38:39], s[72:73], v[116:117]
	v_mul_f64 v[36:37], v[118:119], s[70:71]
	v_add_f64 v[92:93], v[140:141], v[92:93]
	v_add_f64 v[126:127], v[38:39], v[126:127]
	v_fma_f64 v[38:39], s[2:3], v[60:61], v[36:37]
	v_add_f64 v[136:137], v[136:137], v[144:145]
	v_add_f64 v[92:93], v[132:133], v[92:93]
	;; [unrolled: 1-line block ×3, first 2 shown]
	v_mul_f64 v[38:39], v[114:115], s[2:3]
	v_fma_f64 v[36:37], v[60:61], s[2:3], -v[36:37]
	v_add_f64 v[138:139], v[138:139], v[146:147]
	v_add_f64 v[46:47], v[46:47], v[134:135]
	;; [unrolled: 1-line block ×4, first 2 shown]
	v_fma_f64 v[40:41], s[68:69], v[116:117], v[38:39]
	v_add_f64 v[136:137], v[36:37], v[44:45]
	v_fmac_f64_e32 v[38:39], s[70:71], v[116:117]
	v_mul_f64 v[36:37], v[118:119], s[16:17]
	v_add_f64 v[130:131], v[130:131], v[138:139]
	v_add_f64 v[138:139], v[38:39], v[46:47]
	v_fma_f64 v[38:39], s[94:95], v[60:61], v[36:37]
	v_add_f64 v[140:141], v[38:39], v[58:59]
	v_mul_f64 v[38:39], v[114:115], s[94:95]
	v_fma_f64 v[36:37], v[60:61], s[94:95], -v[36:37]
	v_add_f64 v[134:135], v[40:41], v[48:49]
	v_fma_f64 v[40:41], s[74:75], v[116:117], v[38:39]
	v_add_f64 v[144:145], v[36:37], v[52:53]
	v_fmac_f64_e32 v[38:39], s[16:17], v[116:117]
	v_mul_f64 v[36:37], v[118:119], vcc
	v_add_f64 v[146:147], v[38:39], v[54:55]
	v_fma_f64 v[38:39], s[4:5], v[60:61], v[36:37]
	v_add_f64 v[98:99], v[38:39], v[98:99]
	v_mul_f64 v[38:39], v[114:115], s[4:5]
	v_fma_f64 v[36:37], v[60:61], s[4:5], -v[36:37]
	v_add_f64 v[142:143], v[40:41], v[56:57]
	v_fma_f64 v[40:41], s[24:25], v[116:117], v[38:39]
	v_add_f64 v[148:149], v[36:37], v[64:65]
	v_fmac_f64_e32 v[38:39], vcc, v[116:117]
	v_mul_f64 v[36:37], v[118:119], s[76:77]
	v_add_f64 v[150:151], v[38:39], v[66:67]
	v_fma_f64 v[38:39], s[96:97], v[60:61], v[36:37]
	v_add_f64 v[66:67], v[38:39], v[72:73]
	v_mul_f64 v[38:39], v[114:115], s[96:97]
	v_add_f64 v[80:81], v[40:41], v[80:81]
	v_fma_f64 v[40:41], s[98:99], v[116:117], v[38:39]
	v_fma_f64 v[36:37], v[60:61], s[96:97], -v[36:37]
	v_mul_f64 v[44:45], v[118:119], s[20:21]
	v_mul_f64 v[52:53], v[118:119], s[22:23]
	;; [unrolled: 1-line block ×3, first 2 shown]
	v_add_f64 v[64:65], v[40:41], v[74:75]
	v_add_f64 v[36:37], v[36:37], v[76:77]
	v_fma_f64 v[40:41], s[6:7], v[60:61], v[44:45]
	v_fma_f64 v[44:45], v[60:61], s[6:7], -v[44:45]
	v_fma_f64 v[48:49], s[10:11], v[60:61], v[52:53]
	v_fma_f64 v[52:53], v[60:61], s[10:11], -v[52:53]
	v_fma_f64 v[56:57], s[8:9], v[60:61], v[72:73]
	v_mul_f64 v[74:75], v[114:115], s[8:9]
	v_fma_f64 v[60:61], v[60:61], s[8:9], -v[72:73]
	v_add_f64 v[72:73], v[28:29], v[32:33]
	v_add_f64 v[76:77], v[28:29], -v[32:33]
	v_add_f64 v[32:33], v[30:31], -v[34:35]
	v_fma_f64 v[58:59], s[18:19], v[116:117], v[74:75]
	v_fmac_f64_e32 v[74:75], s[12:13], v[116:117]
	v_mul_f64 v[28:29], v[32:33], s[74:75]
	v_fmac_f64_e32 v[38:39], s[76:77], v[116:117]
	v_mul_f64 v[46:47], v[114:115], s[6:7]
	v_add_f64 v[60:61], v[60:61], v[62:63]
	v_add_f64 v[62:63], v[74:75], v[112:113]
	;; [unrolled: 1-line block ×3, first 2 shown]
	v_fma_f64 v[30:31], s[94:95], v[72:73], v[28:29]
	v_add_f64 v[38:39], v[38:39], v[78:79]
	v_fma_f64 v[42:43], s[88:89], v[116:117], v[46:47]
	v_add_f64 v[78:79], v[30:31], v[120:121]
	v_mul_f64 v[30:31], v[74:75], s[94:95]
	v_fma_f64 v[28:29], v[72:73], s[94:95], -v[28:29]
	v_add_f64 v[42:43], v[42:43], v[84:85]
	v_fma_f64 v[34:35], s[16:17], v[76:77], v[30:31]
	v_add_f64 v[84:85], v[28:29], v[124:125]
	v_fmac_f64_e32 v[30:31], s[74:75], v[76:77]
	v_mul_f64 v[28:29], v[32:33], s[88:89]
	v_add_f64 v[44:45], v[44:45], v[86:87]
	v_fmac_f64_e32 v[46:47], s[20:21], v[116:117]
	v_mul_f64 v[54:55], v[114:115], s[10:11]
	v_add_f64 v[86:87], v[30:31], v[126:127]
	v_fma_f64 v[30:31], s[6:7], v[72:73], v[28:29]
	v_add_f64 v[46:47], v[46:47], v[88:89]
	v_fma_f64 v[50:51], s[78:79], v[116:117], v[54:55]
	v_add_f64 v[88:89], v[30:31], v[132:133]
	v_mul_f64 v[30:31], v[74:75], s[6:7]
	v_fma_f64 v[28:29], v[72:73], s[6:7], -v[28:29]
	v_add_f64 v[40:41], v[40:41], v[82:83]
	v_add_f64 v[50:51], v[50:51], v[92:93]
	;; [unrolled: 1-line block ×3, first 2 shown]
	v_fma_f64 v[34:35], s[20:21], v[76:77], v[30:31]
	v_add_f64 v[92:93], v[28:29], v[136:137]
	v_fmac_f64_e32 v[30:31], s[88:89], v[76:77]
	v_mul_f64 v[28:29], v[32:33], s[12:13]
	v_add_f64 v[52:53], v[52:53], v[94:95]
	v_fmac_f64_e32 v[54:55], s[22:23], v[116:117]
	v_add_f64 v[94:95], v[30:31], v[138:139]
	v_fma_f64 v[30:31], s[8:9], v[72:73], v[28:29]
	v_add_f64 v[54:55], v[54:55], v[96:97]
	v_add_f64 v[96:97], v[30:31], v[140:141]
	v_mul_f64 v[30:31], v[74:75], s[8:9]
	v_fma_f64 v[28:29], v[72:73], s[8:9], -v[28:29]
	v_add_f64 v[48:49], v[48:49], v[90:91]
	v_add_f64 v[90:91], v[34:35], v[134:135]
	v_fma_f64 v[34:35], s[18:19], v[76:77], v[30:31]
	v_add_f64 v[114:115], v[28:29], v[144:145]
	v_fmac_f64_e32 v[30:31], s[12:13], v[76:77]
	v_mul_f64 v[28:29], v[32:33], s[76:77]
	v_add_f64 v[116:117], v[30:31], v[146:147]
	v_fma_f64 v[30:31], s[96:97], v[72:73], v[28:29]
	v_add_f64 v[98:99], v[30:31], v[98:99]
	v_mul_f64 v[30:31], v[74:75], s[96:97]
	v_fma_f64 v[28:29], v[72:73], s[96:97], -v[28:29]
	v_add_f64 v[112:113], v[34:35], v[142:143]
	v_fma_f64 v[34:35], s[98:99], v[76:77], v[30:31]
	v_add_f64 v[118:119], v[28:29], v[148:149]
	v_fmac_f64_e32 v[30:31], s[76:77], v[76:77]
	v_mul_f64 v[28:29], v[32:33], s[70:71]
	v_add_f64 v[120:121], v[30:31], v[150:151]
	v_fma_f64 v[30:31], s[2:3], v[72:73], v[28:29]
	v_add_f64 v[66:67], v[30:31], v[66:67]
	v_mul_f64 v[30:31], v[74:75], s[2:3]
	v_fma_f64 v[28:29], v[72:73], s[2:3], -v[28:29]
	;; [unrolled: 10-line block ×3, first 2 shown]
	v_add_f64 v[64:65], v[34:35], v[64:65]
	v_fma_f64 v[34:35], s[72:73], v[76:77], v[30:31]
	v_add_f64 v[44:45], v[28:29], v[44:45]
	v_fmac_f64_e32 v[30:31], s[14:15], v[76:77]
	v_mul_f64 v[28:29], v[32:33], s[24:25]
	v_add_f64 v[46:47], v[30:31], v[46:47]
	v_fma_f64 v[30:31], s[4:5], v[72:73], v[28:29]
	v_add_f64 v[56:57], v[56:57], v[128:129]
	v_add_f64 v[128:129], v[34:35], v[42:43]
	;; [unrolled: 1-line block ×3, first 2 shown]
	v_mul_f64 v[30:31], v[74:75], s[4:5]
	v_fma_f64 v[34:35], vcc, v[76:77], v[30:31]
	v_fmac_f64_e32 v[30:31], s[24:25], v[76:77]
	v_fma_f64 v[28:29], v[72:73], s[4:5], -v[28:29]
	v_add_f64 v[30:31], v[30:31], v[54:55]
	v_add_f64 v[54:55], v[22:23], v[26:27]
	;; [unrolled: 1-line block ×3, first 2 shown]
	v_mul_f64 v[38:39], v[74:75], s[10:11]
	v_add_f64 v[52:53], v[20:21], v[24:25]
	v_add_f64 v[20:21], v[20:21], -v[24:25]
	v_mul_f64 v[48:49], v[54:55], s[10:11]
	v_add_f64 v[58:59], v[58:59], v[130:131]
	v_add_f64 v[40:41], v[34:35], v[50:51]
	v_mul_f64 v[36:37], v[32:33], s[78:79]
	v_fma_f64 v[34:35], s[22:23], v[76:77], v[38:39]
	v_add_f64 v[22:23], v[22:23], -v[26:27]
	v_fma_f64 v[50:51], s[22:23], v[20:21], v[48:49]
	v_fmac_f64_e32 v[48:49], s[78:79], v[20:21]
	v_fma_f64 v[32:33], s[10:11], v[72:73], v[36:37]
	v_add_f64 v[34:35], v[34:35], v[58:59]
	v_add_f64 v[58:59], v[48:49], v[86:87]
	v_mul_f64 v[48:49], v[22:23], s[16:17]
	v_add_f64 v[32:33], v[32:33], v[56:57]
	v_fma_f64 v[36:37], v[72:73], s[10:11], -v[36:37]
	v_add_f64 v[56:57], v[50:51], v[82:83]
	v_fma_f64 v[50:51], s[94:95], v[52:53], v[48:49]
	v_add_f64 v[36:37], v[36:37], v[60:61]
	v_fmac_f64_e32 v[38:39], s[78:79], v[76:77]
	v_add_f64 v[60:61], v[50:51], v[88:89]
	v_mul_f64 v[50:51], v[54:55], s[94:95]
	v_fma_f64 v[48:49], v[52:53], s[94:95], -v[48:49]
	v_add_f64 v[38:39], v[38:39], v[62:63]
	v_fma_f64 v[62:63], s[74:75], v[20:21], v[50:51]
	v_add_f64 v[72:73], v[48:49], v[92:93]
	v_fmac_f64_e32 v[50:51], s[16:17], v[20:21]
	v_mul_f64 v[48:49], v[22:23], s[24:25]
	v_mul_f64 v[24:25], v[22:23], s[78:79]
	v_add_f64 v[74:75], v[50:51], v[94:95]
	v_fma_f64 v[50:51], s[4:5], v[52:53], v[48:49]
	v_fma_f64 v[26:27], s[10:11], v[52:53], v[24:25]
	v_fma_f64 v[24:25], v[52:53], s[10:11], -v[24:25]
	v_add_f64 v[76:77], v[50:51], v[96:97]
	v_mul_f64 v[50:51], v[54:55], s[4:5]
	v_fma_f64 v[48:49], v[52:53], s[4:5], -v[48:49]
	v_add_f64 v[26:27], v[26:27], v[78:79]
	v_add_f64 v[24:25], v[24:25], v[84:85]
	v_fma_f64 v[78:79], vcc, v[20:21], v[50:51]
	v_add_f64 v[84:85], v[48:49], v[114:115]
	v_fmac_f64_e32 v[50:51], s[24:25], v[20:21]
	v_mul_f64 v[48:49], v[22:23], s[20:21]
	v_add_f64 v[86:87], v[50:51], v[116:117]
	v_fma_f64 v[50:51], s[6:7], v[52:53], v[48:49]
	v_add_f64 v[88:89], v[50:51], v[98:99]
	v_mul_f64 v[50:51], v[54:55], s[6:7]
	v_fma_f64 v[48:49], v[52:53], s[6:7], -v[48:49]
	v_fma_f64 v[82:83], s[88:89], v[20:21], v[50:51]
	v_add_f64 v[92:93], v[48:49], v[118:119]
	v_fmac_f64_e32 v[50:51], s[20:21], v[20:21]
	v_mul_f64 v[48:49], v[22:23], s[14:15]
	v_add_f64 v[94:95], v[50:51], v[120:121]
	v_fma_f64 v[50:51], s[34:35], v[52:53], v[48:49]
	v_add_f64 v[66:67], v[50:51], v[66:67]
	v_mul_f64 v[50:51], v[54:55], s[34:35]
	v_add_f64 v[62:63], v[62:63], v[90:91]
	v_add_f64 v[90:91], v[82:83], v[80:81]
	v_fma_f64 v[80:81], s[72:73], v[20:21], v[50:51]
	v_add_f64 v[64:65], v[80:81], v[64:65]
	v_fma_f64 v[48:49], v[52:53], s[34:35], -v[48:49]
	v_mul_f64 v[80:81], v[22:23], s[18:19]
	v_add_f64 v[96:97], v[48:49], v[122:123]
	v_fmac_f64_e32 v[50:51], s[14:15], v[20:21]
	v_fma_f64 v[48:49], s[8:9], v[52:53], v[80:81]
	v_mul_f64 v[82:83], v[54:55], s[8:9]
	v_fma_f64 v[80:81], v[52:53], s[8:9], -v[80:81]
	v_add_f64 v[98:99], v[50:51], v[124:125]
	v_fma_f64 v[50:51], s[12:13], v[20:21], v[82:83]
	v_add_f64 v[44:45], v[80:81], v[44:45]
	v_fmac_f64_e32 v[82:83], s[18:19], v[20:21]
	v_mul_f64 v[80:81], v[22:23], s[70:71]
	v_add_f64 v[46:47], v[82:83], v[46:47]
	v_fma_f64 v[82:83], s[2:3], v[52:53], v[80:81]
	v_add_f64 v[78:79], v[78:79], v[112:113]
	v_add_f64 v[112:113], v[82:83], v[42:43]
	v_mul_f64 v[42:43], v[54:55], s[2:3]
	v_fma_f64 v[82:83], s[68:69], v[20:21], v[42:43]
	v_add_f64 v[134:135], v[14:15], -v[18:19]
	v_add_f64 v[50:51], v[50:51], v[128:129]
	v_add_f64 v[114:115], v[82:83], v[40:41]
	v_fma_f64 v[40:41], v[52:53], s[2:3], -v[80:81]
	v_mul_f64 v[22:23], v[22:23], s[98:99]
	v_add_f64 v[128:129], v[12:13], v[16:17]
	v_add_f64 v[132:133], v[12:13], -v[16:17]
	v_mul_f64 v[12:13], v[134:135], s[20:21]
	v_add_f64 v[116:117], v[40:41], v[28:29]
	v_fma_f64 v[28:29], s[96:97], v[52:53], v[22:23]
	v_fma_f64 v[22:23], v[52:53], s[96:97], -v[22:23]
	v_add_f64 v[130:131], v[14:15], v[18:19]
	v_fma_f64 v[14:15], s[6:7], v[128:129], v[12:13]
	v_mul_f64 v[52:53], v[134:135], s[70:71]
	v_add_f64 v[48:49], v[48:49], v[126:127]
	v_add_f64 v[120:121], v[28:29], v[32:33]
	v_mul_f64 v[28:29], v[54:55], s[96:97]
	v_add_f64 v[136:137], v[14:15], v[26:27]
	v_mul_f64 v[14:15], v[130:131], s[6:7]
	v_fma_f64 v[54:55], s[2:3], v[128:129], v[52:53]
	v_fma_f64 v[16:17], s[88:89], v[132:133], v[14:15]
	v_fma_f64 v[12:13], v[128:129], s[6:7], -v[12:13]
	v_add_f64 v[48:49], v[54:55], v[48:49]
	v_mul_f64 v[54:55], v[130:131], s[2:3]
	v_fmac_f64_e32 v[42:43], s[70:71], v[20:21]
	v_add_f64 v[138:139], v[16:17], v[56:57]
	v_add_f64 v[82:83], v[12:13], v[24:25]
	v_fmac_f64_e32 v[14:15], s[20:21], v[132:133]
	v_mul_f64 v[12:13], v[134:135], s[98:99]
	v_fma_f64 v[56:57], s[68:69], v[132:133], v[54:55]
	v_add_f64 v[118:119], v[42:43], v[30:31]
	v_fma_f64 v[30:31], s[76:77], v[20:21], v[28:29]
	v_add_f64 v[124:125], v[22:23], v[36:37]
	v_fmac_f64_e32 v[28:29], s[98:99], v[20:21]
	v_add_f64 v[80:81], v[14:15], v[58:59]
	v_fma_f64 v[14:15], s[96:97], v[128:129], v[12:13]
	v_mul_f64 v[20:21], v[134:135], s[72:73]
	v_mul_f64 v[36:37], v[134:135], s[24:25]
	v_add_f64 v[50:51], v[56:57], v[50:51]
	v_fma_f64 v[52:53], v[128:129], s[2:3], -v[52:53]
	v_mul_f64 v[56:57], v[134:135], s[12:13]
	v_add_f64 v[126:127], v[28:29], v[38:39]
	v_add_f64 v[16:17], v[14:15], v[60:61]
	v_mul_f64 v[14:15], v[130:131], s[96:97]
	v_fma_f64 v[22:23], s[34:35], v[128:129], v[20:21]
	v_fma_f64 v[38:39], s[4:5], v[128:129], v[36:37]
	v_add_f64 v[44:45], v[52:53], v[44:45]
	v_fmac_f64_e32 v[54:55], s[70:71], v[132:133]
	v_fma_f64 v[52:53], s[8:9], v[128:129], v[56:57]
	v_mul_f64 v[58:59], v[130:131], s[8:9]
	v_fma_f64 v[56:57], v[128:129], s[8:9], -v[56:57]
	v_fma_f64 v[18:19], s[76:77], v[132:133], v[14:15]
	v_fma_f64 v[12:13], v[128:129], s[96:97], -v[12:13]
	v_add_f64 v[24:25], v[22:23], v[76:77]
	v_mul_f64 v[22:23], v[130:131], s[34:35]
	v_add_f64 v[40:41], v[38:39], v[66:67]
	v_add_f64 v[46:47], v[54:55], v[46:47]
	v_fma_f64 v[54:55], s[18:19], v[132:133], v[58:59]
	v_add_f64 v[66:67], v[56:57], v[116:117]
	v_fmac_f64_e32 v[58:59], s[12:13], v[132:133]
	v_mul_f64 v[56:57], v[134:135], s[74:75]
	v_add_f64 v[18:19], v[18:19], v[62:63]
	v_add_f64 v[12:13], v[12:13], v[72:73]
	v_fmac_f64_e32 v[14:15], s[98:99], v[132:133]
	v_fma_f64 v[26:27], s[14:15], v[132:133], v[22:23]
	v_mul_f64 v[38:39], v[130:131], s[4:5]
	v_add_f64 v[72:73], v[58:59], v[118:119]
	v_fma_f64 v[58:59], s[94:95], v[128:129], v[56:57]
	v_mul_f64 v[62:63], v[130:131], s[94:95]
	v_add_f64 v[122:123], v[30:31], v[34:35]
	v_add_f64 v[14:15], v[14:15], v[74:75]
	;; [unrolled: 1-line block ×3, first 2 shown]
	v_fma_f64 v[42:43], vcc, v[132:133], v[38:39]
	v_add_f64 v[74:75], v[58:59], v[120:121]
	v_fma_f64 v[58:59], s[16:17], v[132:133], v[62:63]
	v_fma_f64 v[56:57], v[128:129], s[94:95], -v[56:57]
	v_fmac_f64_e32 v[62:63], s[74:75], v[132:133]
	v_add_f64 v[78:79], v[6:7], -v[10:11]
	v_add_f64 v[42:43], v[42:43], v[64:65]
	v_add_f64 v[60:61], v[58:59], v[122:123]
	;; [unrolled: 1-line block ×5, first 2 shown]
	v_add_f64 v[62:63], v[4:5], -v[8:9]
	v_mul_f64 v[4:5], v[78:79], s[70:71]
	v_add_f64 v[76:77], v[6:7], v[10:11]
	v_fma_f64 v[6:7], s[2:3], v[64:65], v[4:5]
	v_add_f64 v[8:9], v[6:7], v[136:137]
	v_mul_f64 v[6:7], v[76:77], s[2:3]
	v_fma_f64 v[10:11], s[68:69], v[62:63], v[6:7]
	v_fmac_f64_e32 v[6:7], s[70:71], v[62:63]
	v_fma_f64 v[4:5], v[64:65], s[2:3], -v[4:5]
	v_add_f64 v[6:7], v[6:7], v[80:81]
	v_mul_f64 v[80:81], v[78:79], vcc
	v_add_f64 v[4:5], v[4:5], v[82:83]
	v_fma_f64 v[82:83], s[4:5], v[64:65], v[80:81]
	v_fma_f64 v[20:21], v[128:129], s[34:35], -v[20:21]
	v_add_f64 v[16:17], v[82:83], v[16:17]
	v_mul_f64 v[82:83], v[76:77], s[4:5]
	v_fma_f64 v[80:81], v[64:65], s[4:5], -v[80:81]
	v_add_f64 v[20:21], v[20:21], v[84:85]
	v_fma_f64 v[84:85], s[24:25], v[62:63], v[82:83]
	v_add_f64 v[12:13], v[80:81], v[12:13]
	v_fmac_f64_e32 v[82:83], vcc, v[62:63]
	v_mul_f64 v[80:81], v[78:79], s[20:21]
	v_add_f64 v[14:15], v[82:83], v[14:15]
	v_fma_f64 v[82:83], s[6:7], v[64:65], v[80:81]
	v_fmac_f64_e32 v[22:23], s[72:73], v[132:133]
	v_mul_f64 v[28:29], v[134:135], s[22:23]
	v_add_f64 v[24:25], v[82:83], v[24:25]
	v_mul_f64 v[82:83], v[76:77], s[6:7]
	v_fma_f64 v[80:81], v[64:65], s[6:7], -v[80:81]
	v_add_f64 v[22:23], v[22:23], v[86:87]
	v_fma_f64 v[30:31], s[10:11], v[128:129], v[28:29]
	v_add_f64 v[18:19], v[84:85], v[18:19]
	v_fma_f64 v[84:85], s[88:89], v[62:63], v[82:83]
	v_add_f64 v[20:21], v[80:81], v[20:21]
	v_fmac_f64_e32 v[82:83], s[20:21], v[62:63]
	v_mul_f64 v[80:81], v[78:79], s[12:13]
	v_add_f64 v[32:33], v[30:31], v[88:89]
	v_mul_f64 v[30:31], v[130:131], s[10:11]
	v_fma_f64 v[28:29], v[128:129], s[10:11], -v[28:29]
	v_add_f64 v[22:23], v[82:83], v[22:23]
	v_fma_f64 v[82:83], s[8:9], v[64:65], v[80:81]
	v_fma_f64 v[34:35], s[78:79], v[132:133], v[30:31]
	v_add_f64 v[28:29], v[28:29], v[92:93]
	v_fmac_f64_e32 v[30:31], s[22:23], v[132:133]
	v_add_f64 v[32:33], v[82:83], v[32:33]
	v_mul_f64 v[82:83], v[76:77], s[8:9]
	v_fma_f64 v[80:81], v[64:65], s[8:9], -v[80:81]
	v_add_f64 v[30:31], v[30:31], v[94:95]
	v_add_f64 v[26:27], v[84:85], v[26:27]
	v_fma_f64 v[84:85], s[18:19], v[62:63], v[82:83]
	v_add_f64 v[28:29], v[80:81], v[28:29]
	v_fmac_f64_e32 v[82:83], s[12:13], v[62:63]
	v_mul_f64 v[80:81], v[78:79], s[78:79]
	v_fma_f64 v[36:37], v[128:129], s[4:5], -v[36:37]
	v_add_f64 v[30:31], v[82:83], v[30:31]
	v_fma_f64 v[82:83], s[10:11], v[64:65], v[80:81]
	v_add_f64 v[34:35], v[34:35], v[90:91]
	v_add_f64 v[36:37], v[36:37], v[96:97]
	v_fmac_f64_e32 v[38:39], s[24:25], v[132:133]
	v_add_f64 v[40:41], v[82:83], v[40:41]
	v_mul_f64 v[82:83], v[76:77], s[10:11]
	v_fma_f64 v[80:81], v[64:65], s[10:11], -v[80:81]
	v_add_f64 v[38:39], v[38:39], v[98:99]
	v_add_f64 v[34:35], v[84:85], v[34:35]
	v_fma_f64 v[84:85], s[22:23], v[62:63], v[82:83]
	v_add_f64 v[36:37], v[80:81], v[36:37]
	v_fmac_f64_e32 v[82:83], s[78:79], v[62:63]
	v_mul_f64 v[80:81], v[78:79], s[98:99]
	v_add_f64 v[38:39], v[82:83], v[38:39]
	v_fma_f64 v[82:83], s[96:97], v[64:65], v[80:81]
	v_add_f64 v[48:49], v[82:83], v[48:49]
	v_mul_f64 v[82:83], v[76:77], s[96:97]
	v_fma_f64 v[80:81], v[64:65], s[96:97], -v[80:81]
	v_add_f64 v[42:43], v[84:85], v[42:43]
	v_fma_f64 v[84:85], s[76:77], v[62:63], v[82:83]
	v_add_f64 v[44:45], v[80:81], v[44:45]
	v_fmac_f64_e32 v[82:83], s[98:99], v[62:63]
	v_mul_f64 v[80:81], v[78:79], s[74:75]
	v_add_f64 v[52:53], v[52:53], v[112:113]
	v_add_f64 v[46:47], v[82:83], v[46:47]
	v_fma_f64 v[82:83], s[94:95], v[64:65], v[80:81]
	v_add_f64 v[52:53], v[82:83], v[52:53]
	v_mul_f64 v[82:83], v[76:77], s[94:95]
	v_fma_f64 v[80:81], v[64:65], s[94:95], -v[80:81]
	v_add_f64 v[50:51], v[84:85], v[50:51]
	v_fma_f64 v[84:85], s[16:17], v[62:63], v[82:83]
	v_add_f64 v[80:81], v[80:81], v[66:67]
	v_fmac_f64_e32 v[82:83], s[74:75], v[62:63]
	v_mul_f64 v[66:67], v[78:79], s[14:15]
	v_add_f64 v[82:83], v[82:83], v[72:73]
	v_fma_f64 v[72:73], s[34:35], v[64:65], v[66:67]
	v_mul_f64 v[76:77], v[76:77], s[34:35]
	v_add_f64 v[72:73], v[72:73], v[74:75]
	v_fma_f64 v[74:75], s[72:73], v[62:63], v[76:77]
	v_add_f64 v[54:55], v[54:55], v[114:115]
	v_add_f64 v[10:11], v[10:11], v[138:139]
	;; [unrolled: 1-line block ×3, first 2 shown]
	v_fma_f64 v[60:61], v[64:65], s[34:35], -v[66:67]
	v_fmac_f64_e32 v[76:77], s[14:15], v[62:63]
	v_add_f64 v[54:55], v[84:85], v[54:55]
	v_add_f64 v[58:59], v[60:61], v[58:59]
	;; [unrolled: 1-line block ×3, first 2 shown]
	ds_write_b128 v100, v[0:3]
	ds_write_b128 v100, v[8:11] offset:16
	ds_write_b128 v100, v[16:19] offset:32
	;; [unrolled: 1-line block ×16, first 2 shown]
	s_waitcnt lgkmcnt(0)
	s_barrier
	ds_read_b128 v[0:3], v100
	ds_read_b128 v[4:7], v100 offset:16
	ds_read_b128 v[8:11], v100 offset:32
	;; [unrolled: 1-line block ×3, first 2 shown]
	v_readlane_b32 s4, v111, 4
	v_readlane_b32 s6, v111, 6
	;; [unrolled: 1-line block ×5, first 2 shown]
	s_waitcnt lgkmcnt(3)
	v_mul_f64 v[16:17], s[6:7], v[2:3]
	v_readlane_b32 s11, v111, 11
	v_fmac_f64_e32 v[16:17], s[4:5], v[0:1]
	v_mul_f64 v[0:1], s[6:7], v[0:1]
	v_readlane_b32 s8, v111, 8
	v_readlane_b32 s9, v111, 9
	s_mov_b32 s0, 0x1e1e1e1e
	v_fma_f64 v[0:1], s[4:5], v[2:3], -v[0:1]
	s_waitcnt lgkmcnt(2)
	v_mul_f64 v[2:3], s[10:11], v[6:7]
	s_mov_b32 s1, 0x3fae1e1e
	v_fmac_f64_e32 v[2:3], s[8:9], v[4:5]
	v_mul_f64 v[4:5], s[10:11], v[4:5]
	v_readlane_b32 s20, v111, 0
	v_mul_f64 v[18:19], v[0:1], s[0:1]
	v_lshl_add_u64 v[0:1], v[70:71], 4, v[68:69]
	v_fma_f64 v[4:5], s[8:9], v[6:7], -v[4:5]
	v_readlane_b32 s21, v111, 1
	v_readlane_b32 s14, v111, 14
	;; [unrolled: 1-line block ×3, first 2 shown]
	v_mul_f64 v[16:17], v[16:17], s[0:1]
	v_mul_f64 v[2:3], v[2:3], s[0:1]
	;; [unrolled: 1-line block ×3, first 2 shown]
	v_lshl_add_u64 v[6:7], s[20:21], 4, v[0:1]
	v_readlane_b32 s12, v111, 12
	v_readlane_b32 s13, v111, 13
	global_store_dwordx4 v[0:1], v[16:19], off
	global_store_dwordx4 v[6:7], v[2:5], off
	s_lshl_b64 s[2:3], s[20:21], 5
	v_lshl_add_u64 v[6:7], v[0:1], 0, s[2:3]
	s_waitcnt lgkmcnt(1)
	v_mul_f64 v[2:3], s[14:15], v[10:11]
	v_mul_f64 v[4:5], s[14:15], v[8:9]
	v_fmac_f64_e32 v[2:3], s[12:13], v[8:9]
	v_fma_f64 v[4:5], s[12:13], v[10:11], -v[4:5]
	v_mul_f64 v[2:3], v[2:3], s[0:1]
	v_mul_f64 v[4:5], v[4:5], s[0:1]
	v_readlane_b32 s18, v111, 18
	v_readlane_b32 s19, v111, 19
	global_store_dwordx4 v[6:7], v[2:5], off
	v_mad_u64_u32 v[6:7], s[2:3], s20, 48, v[0:1]
	v_readlane_b32 s16, v111, 16
	v_readlane_b32 s17, v111, 17
	s_waitcnt lgkmcnt(0)
	v_mul_f64 v[2:3], s[18:19], v[14:15]
	v_mul_f64 v[4:5], s[18:19], v[12:13]
	v_mov_b32_e32 v8, v7
	v_fmac_f64_e32 v[2:3], s[16:17], v[12:13]
	v_fma_f64 v[4:5], s[16:17], v[14:15], -v[4:5]
	v_mad_u64_u32 v[8:9], s[2:3], s21, 48, v[8:9]
	v_mul_f64 v[2:3], v[2:3], s[0:1]
	v_mul_f64 v[4:5], v[4:5], s[0:1]
	v_mov_b32_e32 v7, v8
	global_store_dwordx4 v[6:7], v[2:5], off
	ds_read_b128 v[2:5], v100 offset:64
	v_readlane_b32 s4, v111, 20
	v_readlane_b32 s6, v111, 22
	;; [unrolled: 1-line block ×4, first 2 shown]
	s_lshl_b64 s[2:3], s[20:21], 6
	s_waitcnt lgkmcnt(0)
	v_mul_f64 v[6:7], s[6:7], v[4:5]
	v_fmac_f64_e32 v[6:7], s[4:5], v[2:3]
	v_mul_f64 v[2:3], s[6:7], v[2:3]
	v_fma_f64 v[2:3], s[4:5], v[4:5], -v[2:3]
	v_mul_f64 v[6:7], v[6:7], s[0:1]
	v_mul_f64 v[8:9], v[2:3], s[0:1]
	v_lshl_add_u64 v[2:3], v[0:1], 0, s[2:3]
	global_store_dwordx4 v[2:3], v[6:9], off
	ds_read_b128 v[2:5], v100 offset:80
	v_readlane_b32 s8, v111, 24
	v_readlane_b32 s9, v111, 25
	;; [unrolled: 1-line block ×12, first 2 shown]
	s_mov_b64 s[4:5], s[8:9]
	s_mov_b64 s[6:7], s[10:11]
	s_waitcnt lgkmcnt(0)
	v_mul_f64 v[6:7], s[6:7], v[4:5]
	v_fmac_f64_e32 v[6:7], s[4:5], v[2:3]
	v_mul_f64 v[2:3], s[6:7], v[2:3]
	v_fma_f64 v[2:3], s[4:5], v[4:5], -v[2:3]
	v_mul_f64 v[8:9], v[2:3], s[0:1]
	v_mad_u64_u32 v[2:3], s[2:3], s20, v102, v[0:1]
	s_mul_i32 s2, s21, 0x50
	v_mul_f64 v[6:7], v[6:7], s[0:1]
	v_add_u32_e32 v3, s2, v3
	global_store_dwordx4 v[2:3], v[6:9], off
	ds_read_b128 v[2:5], v100 offset:96
	s_mov_b64 s[8:9], s[12:13]
	s_mov_b64 s[10:11], s[14:15]
	;; [unrolled: 1-line block ×4, first 2 shown]
	s_waitcnt lgkmcnt(0)
	v_mul_f64 v[6:7], s[10:11], v[4:5]
	v_fmac_f64_e32 v[6:7], s[8:9], v[2:3]
	v_mul_f64 v[2:3], s[10:11], v[2:3]
	v_fma_f64 v[2:3], s[8:9], v[4:5], -v[2:3]
	v_mul_f64 v[8:9], v[2:3], s[0:1]
	v_mad_u64_u32 v[2:3], s[2:3], s20, v103, v[0:1]
	s_mul_i32 s2, s21, 0x60
	v_mul_f64 v[6:7], v[6:7], s[0:1]
	v_add_u32_e32 v3, s2, v3
	global_store_dwordx4 v[2:3], v[6:9], off
	ds_read_b128 v[2:5], v100 offset:112
	v_readlane_b32 s22, v111, 2
	v_readlane_b32 s23, v111, 3
	s_waitcnt lgkmcnt(0)
	v_mul_f64 v[6:7], s[14:15], v[4:5]
	v_fmac_f64_e32 v[6:7], s[12:13], v[2:3]
	v_mul_f64 v[2:3], s[14:15], v[2:3]
	v_fma_f64 v[2:3], s[12:13], v[4:5], -v[2:3]
	v_mul_f64 v[8:9], v[2:3], s[0:1]
	v_mad_u64_u32 v[2:3], s[2:3], s20, v101, v[0:1]
	s_mul_i32 s2, s21, 0x70
	v_mul_f64 v[6:7], v[6:7], s[0:1]
	v_add_u32_e32 v3, s2, v3
	global_store_dwordx4 v[2:3], v[6:9], off
	ds_read_b128 v[2:5], v100 offset:128
	s_lshl_b64 s[2:3], s[20:21], 7
	v_readlane_b32 s4, v111, 36
	v_readlane_b32 s6, v111, 38
	;; [unrolled: 1-line block ×3, first 2 shown]
	s_waitcnt lgkmcnt(0)
	v_mul_f64 v[6:7], s[38:39], v[4:5]
	v_fmac_f64_e32 v[6:7], s[36:37], v[2:3]
	v_mul_f64 v[2:3], s[38:39], v[2:3]
	v_fma_f64 v[2:3], s[36:37], v[4:5], -v[2:3]
	v_mul_f64 v[6:7], v[6:7], s[0:1]
	v_mul_f64 v[8:9], v[2:3], s[0:1]
	v_lshl_add_u64 v[2:3], v[0:1], 0, s[2:3]
	global_store_dwordx4 v[2:3], v[6:9], off
	ds_read_b128 v[2:5], v100 offset:144
	v_readlane_b32 s5, v111, 37
	v_readlane_b32 s8, v111, 40
	v_readlane_b32 s9, v111, 41
	v_readlane_b32 s10, v111, 42
	s_waitcnt lgkmcnt(0)
	v_mul_f64 v[6:7], s[42:43], v[4:5]
	v_fmac_f64_e32 v[6:7], s[40:41], v[2:3]
	v_mul_f64 v[2:3], s[42:43], v[2:3]
	v_fma_f64 v[2:3], s[40:41], v[4:5], -v[2:3]
	v_mul_f64 v[8:9], v[2:3], s[0:1]
	v_mad_u64_u32 v[2:3], s[2:3], s20, v105, v[0:1]
	s_mul_i32 s2, s21, 0x90
	v_mul_f64 v[6:7], v[6:7], s[0:1]
	v_add_u32_e32 v3, s2, v3
	global_store_dwordx4 v[2:3], v[6:9], off
	ds_read_b128 v[2:5], v100 offset:160
	v_readlane_b32 s11, v111, 43
	v_readlane_b32 s12, v111, 44
	v_readlane_b32 s13, v111, 45
	v_readlane_b32 s14, v111, 46
	s_waitcnt lgkmcnt(0)
	v_mul_f64 v[6:7], s[46:47], v[4:5]
	v_fmac_f64_e32 v[6:7], s[44:45], v[2:3]
	v_mul_f64 v[2:3], s[46:47], v[2:3]
	v_fma_f64 v[2:3], s[44:45], v[4:5], -v[2:3]
	v_mul_f64 v[8:9], v[2:3], s[0:1]
	v_mad_u64_u32 v[2:3], s[2:3], s20, v108, v[0:1]
	s_mul_i32 s2, s21, 0xa0
	v_mul_f64 v[6:7], v[6:7], s[0:1]
	v_add_u32_e32 v3, s2, v3
	;; [unrolled: 16-line block ×3, first 2 shown]
	global_store_dwordx4 v[2:3], v[6:9], off
	ds_read_b128 v[2:5], v100 offset:192
	v_readlane_b32 s19, v111, 51
	s_waitcnt lgkmcnt(0)
	v_mul_f64 v[6:7], s[54:55], v[4:5]
	v_fmac_f64_e32 v[6:7], s[52:53], v[2:3]
	v_mul_f64 v[2:3], s[54:55], v[2:3]
	v_fma_f64 v[2:3], s[52:53], v[4:5], -v[2:3]
	v_mul_f64 v[8:9], v[2:3], s[0:1]
	v_mad_u64_u32 v[2:3], s[2:3], s20, v106, v[0:1]
	s_mul_i32 s2, s21, 0xc0
	v_mul_f64 v[6:7], v[6:7], s[0:1]
	v_add_u32_e32 v3, s2, v3
	global_store_dwordx4 v[2:3], v[6:9], off
	ds_read_b128 v[2:5], v100 offset:208
	s_waitcnt lgkmcnt(0)
	v_mul_f64 v[6:7], s[58:59], v[4:5]
	v_fmac_f64_e32 v[6:7], s[56:57], v[2:3]
	v_mul_f64 v[2:3], s[58:59], v[2:3]
	v_fma_f64 v[2:3], s[56:57], v[4:5], -v[2:3]
	v_mul_f64 v[8:9], v[2:3], s[0:1]
	v_mad_u64_u32 v[2:3], s[2:3], s20, v109, v[0:1]
	s_mul_i32 s2, s21, 0xd0
	v_mul_f64 v[6:7], v[6:7], s[0:1]
	v_add_u32_e32 v3, s2, v3
	global_store_dwordx4 v[2:3], v[6:9], off
	ds_read_b128 v[2:5], v100 offset:224
	;; [unrolled: 12-line block ×4, first 2 shown]
	s_waitcnt lgkmcnt(0)
	v_mul_f64 v[6:7], s[6:7], v[4:5]
	v_fmac_f64_e32 v[6:7], s[4:5], v[2:3]
	v_mul_f64 v[2:3], s[6:7], v[2:3]
	v_fma_f64 v[2:3], s[4:5], v[4:5], -v[2:3]
	v_mul_f64 v[6:7], v[6:7], s[0:1]
	v_mul_f64 v[8:9], v[2:3], s[0:1]
	s_lshl_b64 s[0:1], s[20:21], 8
	v_lshl_add_u64 v[0:1], v[0:1], 0, s[0:1]
	global_store_dwordx4 v[0:1], v[6:9], off
.LBB0_2:
	s_endpgm
	.section	.rodata,"a",@progbits
	.p2align	6, 0x0
	.amdhsa_kernel bluestein_single_back_len17_dim1_dp_op_CI_CI
		.amdhsa_group_segment_fixed_size 32640
		.amdhsa_private_segment_fixed_size 0
		.amdhsa_kernarg_size 104
		.amdhsa_user_sgpr_count 2
		.amdhsa_user_sgpr_dispatch_ptr 0
		.amdhsa_user_sgpr_queue_ptr 0
		.amdhsa_user_sgpr_kernarg_segment_ptr 1
		.amdhsa_user_sgpr_dispatch_id 0
		.amdhsa_user_sgpr_kernarg_preload_length 0
		.amdhsa_user_sgpr_kernarg_preload_offset 0
		.amdhsa_user_sgpr_private_segment_size 0
		.amdhsa_uses_dynamic_stack 0
		.amdhsa_enable_private_segment 0
		.amdhsa_system_sgpr_workgroup_id_x 1
		.amdhsa_system_sgpr_workgroup_id_y 0
		.amdhsa_system_sgpr_workgroup_id_z 0
		.amdhsa_system_sgpr_workgroup_info 0
		.amdhsa_system_vgpr_workitem_id 0
		.amdhsa_next_free_vgpr 152
		.amdhsa_next_free_sgpr 100
		.amdhsa_accum_offset 152
		.amdhsa_reserve_vcc 1
		.amdhsa_float_round_mode_32 0
		.amdhsa_float_round_mode_16_64 0
		.amdhsa_float_denorm_mode_32 3
		.amdhsa_float_denorm_mode_16_64 3
		.amdhsa_dx10_clamp 1
		.amdhsa_ieee_mode 1
		.amdhsa_fp16_overflow 0
		.amdhsa_tg_split 0
		.amdhsa_exception_fp_ieee_invalid_op 0
		.amdhsa_exception_fp_denorm_src 0
		.amdhsa_exception_fp_ieee_div_zero 0
		.amdhsa_exception_fp_ieee_overflow 0
		.amdhsa_exception_fp_ieee_underflow 0
		.amdhsa_exception_fp_ieee_inexact 0
		.amdhsa_exception_int_div_zero 0
	.end_amdhsa_kernel
	.text
.Lfunc_end0:
	.size	bluestein_single_back_len17_dim1_dp_op_CI_CI, .Lfunc_end0-bluestein_single_back_len17_dim1_dp_op_CI_CI
                                        ; -- End function
	.section	.AMDGPU.csdata,"",@progbits
; Kernel info:
; codeLenInByte = 16468
; NumSgprs: 106
; NumVgprs: 152
; NumAgprs: 0
; TotalNumVgprs: 152
; ScratchSize: 0
; MemoryBound: 0
; FloatMode: 240
; IeeeMode: 1
; LDSByteSize: 32640 bytes/workgroup (compile time only)
; SGPRBlocks: 13
; VGPRBlocks: 18
; NumSGPRsForWavesPerEU: 106
; NumVGPRsForWavesPerEU: 152
; AccumOffset: 152
; Occupancy: 3
; WaveLimiterHint : 1
; COMPUTE_PGM_RSRC2:SCRATCH_EN: 0
; COMPUTE_PGM_RSRC2:USER_SGPR: 2
; COMPUTE_PGM_RSRC2:TRAP_HANDLER: 0
; COMPUTE_PGM_RSRC2:TGID_X_EN: 1
; COMPUTE_PGM_RSRC2:TGID_Y_EN: 0
; COMPUTE_PGM_RSRC2:TGID_Z_EN: 0
; COMPUTE_PGM_RSRC2:TIDIG_COMP_CNT: 0
; COMPUTE_PGM_RSRC3_GFX90A:ACCUM_OFFSET: 37
; COMPUTE_PGM_RSRC3_GFX90A:TG_SPLIT: 0
	.text
	.p2alignl 6, 3212836864
	.fill 256, 4, 3212836864
	.type	__hip_cuid_f019d3a0035201a6,@object ; @__hip_cuid_f019d3a0035201a6
	.section	.bss,"aw",@nobits
	.globl	__hip_cuid_f019d3a0035201a6
__hip_cuid_f019d3a0035201a6:
	.byte	0                               ; 0x0
	.size	__hip_cuid_f019d3a0035201a6, 1

	.ident	"AMD clang version 19.0.0git (https://github.com/RadeonOpenCompute/llvm-project roc-6.4.0 25133 c7fe45cf4b819c5991fe208aaa96edf142730f1d)"
	.section	".note.GNU-stack","",@progbits
	.addrsig
	.addrsig_sym __hip_cuid_f019d3a0035201a6
	.amdgpu_metadata
---
amdhsa.kernels:
  - .agpr_count:     0
    .args:
      - .actual_access:  read_only
        .address_space:  global
        .offset:         0
        .size:           8
        .value_kind:     global_buffer
      - .actual_access:  read_only
        .address_space:  global
        .offset:         8
        .size:           8
        .value_kind:     global_buffer
      - .actual_access:  read_only
        .address_space:  global
        .offset:         16
        .size:           8
        .value_kind:     global_buffer
      - .actual_access:  read_only
        .address_space:  global
        .offset:         24
        .size:           8
        .value_kind:     global_buffer
      - .actual_access:  read_only
        .address_space:  global
        .offset:         32
        .size:           8
        .value_kind:     global_buffer
      - .offset:         40
        .size:           8
        .value_kind:     by_value
      - .address_space:  global
        .offset:         48
        .size:           8
        .value_kind:     global_buffer
      - .address_space:  global
        .offset:         56
        .size:           8
        .value_kind:     global_buffer
      - .address_space:  global
        .offset:         64
        .size:           8
        .value_kind:     global_buffer
      - .address_space:  global
        .offset:         72
        .size:           8
        .value_kind:     global_buffer
      - .offset:         80
        .size:           4
        .value_kind:     by_value
      - .address_space:  global
        .offset:         88
        .size:           8
        .value_kind:     global_buffer
      - .address_space:  global
        .offset:         96
        .size:           8
        .value_kind:     global_buffer
    .group_segment_fixed_size: 32640
    .kernarg_segment_align: 8
    .kernarg_segment_size: 104
    .language:       OpenCL C
    .language_version:
      - 2
      - 0
    .max_flat_workgroup_size: 120
    .name:           bluestein_single_back_len17_dim1_dp_op_CI_CI
    .private_segment_fixed_size: 0
    .sgpr_count:     106
    .sgpr_spill_count: 52
    .symbol:         bluestein_single_back_len17_dim1_dp_op_CI_CI.kd
    .uniform_work_group_size: 1
    .uses_dynamic_stack: false
    .vgpr_count:     152
    .vgpr_spill_count: 0
    .wavefront_size: 64
amdhsa.target:   amdgcn-amd-amdhsa--gfx950
amdhsa.version:
  - 1
  - 2
...

	.end_amdgpu_metadata
